;; amdgpu-corpus repo=ROCm/hipCUB kind=compiled arch=gfx1030 opt=O3
	.amdgcn_target "amdgcn-amd-amdhsa--gfx1030"
	.amdhsa_code_object_version 6
	.section	.text._Z17flag_heads_kernelIsb15custom_flag_op1IsELj234ELj9EEvPT_Px,"axG",@progbits,_Z17flag_heads_kernelIsb15custom_flag_op1IsELj234ELj9EEvPT_Px,comdat
	.protected	_Z17flag_heads_kernelIsb15custom_flag_op1IsELj234ELj9EEvPT_Px ; -- Begin function _Z17flag_heads_kernelIsb15custom_flag_op1IsELj234ELj9EEvPT_Px
	.globl	_Z17flag_heads_kernelIsb15custom_flag_op1IsELj234ELj9EEvPT_Px
	.p2align	8
	.type	_Z17flag_heads_kernelIsb15custom_flag_op1IsELj234ELj9EEvPT_Px,@function
_Z17flag_heads_kernelIsb15custom_flag_op1IsELj234ELj9EEvPT_Px: ; @_Z17flag_heads_kernelIsb15custom_flag_op1IsELj234ELj9EEvPT_Px
; %bb.0:
	s_load_dwordx4 s[0:3], s[4:5], 0x0
	v_mul_u32_u24_e32 v7, 9, v0
	s_mov_b32 s5, 0
	s_mul_i32 s4, s6, 0x83a
	v_mov_b32_e32 v9, 0
	s_lshl_b64 s[8:9], s[4:5], 1
	v_lshlrev_b32_e32 v1, 1, v7
	v_lshlrev_b32_e32 v8, 1, v0
	v_cmp_ne_u32_e32 vcc_lo, 0, v0
	s_waitcnt lgkmcnt(0)
	s_add_u32 s8, s0, s8
	s_addc_u32 s9, s1, s9
	s_bitcmp0_b32 s6, 0
	s_clause 0x1
	global_load_dwordx2 v[5:6], v1, s[8:9]
	global_load_dwordx4 v[1:4], v1, s[8:9] offset:2
	s_cbranch_scc1 .LBB0_4
; %bb.1:
	s_add_i32 s6, s4, -1
	s_mov_b32 s7, s5
	s_waitcnt vmcnt(0)
	ds_write_b16_d16_hi v8, v4
	s_lshl_b64 s[6:7], s[6:7], 1
	s_add_u32 s0, s0, s6
	s_addc_u32 s1, s1, s7
	global_load_ushort v9, v9, s[0:1]
	s_waitcnt vmcnt(0) lgkmcnt(0)
	s_barrier
	buffer_gl0_inv
	s_and_saveexec_b32 s0, vcc_lo
; %bb.2:
	v_add_nc_u32_e32 v9, -2, v8
	ds_read_u16 v9, v9
; %bb.3:
	s_or_b32 exec_lo, exec_lo, s0
	v_cmp_eq_u16_sdwa s0, v5, v5 src0_sel:WORD_1 src1_sel:DWORD
	v_mov_b32_e32 v14, 8
	s_waitcnt lgkmcnt(0)
	v_cmp_eq_u16_e32 vcc_lo, v9, v5
	v_cndmask_b32_e64 v10, 0, 1, s0
	v_cmp_eq_u16_sdwa s0, v4, v3 src0_sel:DWORD src1_sel:WORD_1
	v_cndmask_b32_e64 v9, 0, 1, vcc_lo
	v_lshlrev_b16 v10, 8, v10
	v_cndmask_b32_e64 v11, 0, 1, s0
	v_cmp_eq_u16_sdwa s0, v3, v2 src0_sel:DWORD src1_sel:WORD_1
	v_lshrrev_b32_sdwa v10, v14, v10 dst_sel:BYTE_1 dst_unused:UNUSED_PAD src0_sel:DWORD src1_sel:DWORD
	v_lshlrev_b16 v11, 8, v11
	v_cndmask_b32_e64 v12, 0, 1, s0
	v_cmp_eq_u16_sdwa s0, v6, v6 src0_sel:WORD_1 src1_sel:DWORD
	v_or_b32_e32 v9, v9, v10
	v_lshrrev_b32_sdwa v11, v14, v11 dst_sel:BYTE_1 dst_unused:UNUSED_PAD src0_sel:DWORD src1_sel:DWORD
	v_lshlrev_b16 v12, 8, v12
	v_cndmask_b32_e64 v13, 0, 1, s0
	v_cmp_eq_u16_sdwa s0, v5, v6 src0_sel:WORD_1 src1_sel:DWORD
	v_lshrrev_b32_sdwa v12, v14, v12 dst_sel:BYTE_1 dst_unused:UNUSED_PAD src0_sel:DWORD src1_sel:DWORD
	v_lshlrev_b16 v13, 8, v13
	v_lshrrev_b32_sdwa v13, v14, v13 dst_sel:BYTE_1 dst_unused:UNUSED_PAD src0_sel:DWORD src1_sel:DWORD
	v_cndmask_b32_e64 v14, 0, 1, s0
	v_cmp_eq_u16_sdwa s0, v6, v2 src0_sel:WORD_1 src1_sel:WORD_1
	v_or_b32_sdwa v13, v14, v13 dst_sel:WORD_1 dst_unused:UNUSED_PAD src0_sel:DWORD src1_sel:DWORD
	v_cndmask_b32_e64 v15, 0, 1, s0
	v_cmp_eq_u16_sdwa s0, v3, v3 src0_sel:DWORD src1_sel:WORD_1
	v_or_b32_e32 v12, v15, v12
	v_cndmask_b32_e64 v16, 0, 1, s0
	v_cmp_eq_u16_sdwa s0, v4, v4 src0_sel:DWORD src1_sel:WORD_1
	v_or_b32_sdwa v14, v16, v11 dst_sel:WORD_1 dst_unused:UNUSED_PAD src0_sel:DWORD src1_sel:DWORD
	v_cndmask_b32_e64 v10, 0, 1, s0
	v_or_b32_sdwa v11, v9, v13 dst_sel:DWORD dst_unused:UNUSED_PAD src0_sel:WORD_0 src1_sel:DWORD
	v_or_b32_sdwa v9, v12, v14 dst_sel:DWORD dst_unused:UNUSED_PAD src0_sel:WORD_0 src1_sel:DWORD
	s_branch .LBB0_8
.LBB0_4:
                                        ; implicit-def: $vgpr10
                                        ; implicit-def: $vgpr9
                                        ; implicit-def: $vgpr11
	s_cbranch_execz .LBB0_8
; %bb.5:
	s_waitcnt vmcnt(0)
	v_cmp_eq_u16_sdwa s0, v3, v4 src0_sel:WORD_1 src1_sel:DWORD
	v_cmp_eq_u16_e32 vcc_lo, v6, v2
	v_lshrrev_b32_e32 v13, 16, v4
	v_mov_b32_e32 v12, 8
	v_cndmask_b32_e64 v10, 0, 1, s0
	v_cmp_eq_u16_sdwa s0, v2, v3 src0_sel:WORD_1 src1_sel:DWORD
	v_cndmask_b32_e64 v9, 0, 1, vcc_lo
	v_cmp_eq_u16_e32 vcc_lo, v5, v1
	ds_write_b16 v8, v13
	v_lshlrev_b16 v10, 8, v10
	v_cndmask_b32_e64 v11, 0, 1, s0
	v_cmp_eq_u16_sdwa s0, v5, v1 src0_sel:WORD_1 src1_sel:WORD_1
	v_cndmask_b32_e64 v14, 0, 1, vcc_lo
	v_cmp_eq_u16_e32 vcc_lo, v4, v13
	v_lshlrev_b16 v9, 8, v9
	v_lshlrev_b16 v11, 8, v11
	v_cndmask_b32_e64 v1, 0, 1, s0
	v_cmp_eq_u16_sdwa s0, v6, v2 src0_sel:WORD_1 src1_sel:WORD_1
	v_lshlrev_b16 v14, 8, v14
	v_cndmask_b32_e64 v4, 0, 1, vcc_lo
	v_lshrrev_b32_sdwa v10, v12, v10 dst_sel:BYTE_1 dst_unused:UNUSED_PAD src0_sel:DWORD src1_sel:DWORD
	v_lshrrev_b32_sdwa v11, v12, v11 dst_sel:BYTE_1 dst_unused:UNUSED_PAD src0_sel:DWORD src1_sel:DWORD
	v_cndmask_b32_e64 v2, 0, 1, s0
	v_cmp_eq_u16_sdwa s0, v3, v3 src0_sel:DWORD src1_sel:WORD_1
	v_lshrrev_b32_sdwa v9, v12, v9 dst_sel:BYTE_1 dst_unused:UNUSED_PAD src0_sel:DWORD src1_sel:DWORD
	v_lshrrev_b32_sdwa v14, v12, v14 dst_sel:BYTE_1 dst_unused:UNUSED_PAD src0_sel:DWORD src1_sel:DWORD
	v_lshlrev_b16 v6, 8, v4
	v_or_b32_e32 v2, v2, v11
	v_cndmask_b32_e64 v3, 0, 1, s0
	v_or_b32_sdwa v1, v1, v9 dst_sel:WORD_1 dst_unused:UNUSED_PAD src0_sel:DWORD src1_sel:DWORD
	v_or_b32_e32 v9, 1, v14
	v_lshrrev_b32_e32 v6, 8, v6
	s_mov_b32 s0, exec_lo
	v_or_b32_sdwa v3, v3, v10 dst_sel:WORD_1 dst_unused:UNUSED_PAD src0_sel:DWORD src1_sel:DWORD
	s_waitcnt lgkmcnt(0)
	v_or_b32_sdwa v11, v9, v1 dst_sel:DWORD dst_unused:UNUSED_PAD src0_sel:WORD_0 src1_sel:DWORD
	v_and_b32_e32 v10, 1, v6
	s_barrier
	v_or_b32_sdwa v9, v2, v3 dst_sel:DWORD dst_unused:UNUSED_PAD src0_sel:WORD_0 src1_sel:DWORD
	buffer_gl0_inv
	v_cmpx_ne_u32_e32 0, v0
	s_cbranch_execz .LBB0_7
; %bb.6:
	v_add_nc_u32_e32 v0, -2, v8
	v_mov_b32_e32 v1, 24
	v_mov_b32_e32 v2, 0xff
	v_lshrrev_b32_sdwa v3, v12, v11 dst_sel:BYTE_1 dst_unused:UNUSED_PAD src0_sel:DWORD src1_sel:DWORD
	v_mov_b32_e32 v10, v4
	ds_read_u16 v0, v0
	v_lshrrev_b32_sdwa v1, v1, v11 dst_sel:BYTE_1 dst_unused:UNUSED_PAD src0_sel:DWORD src1_sel:DWORD
	v_and_b32_sdwa v2, v11, v2 dst_sel:DWORD dst_unused:UNUSED_PAD src0_sel:WORD_1 src1_sel:DWORD
	v_or_b32_sdwa v1, v2, v1 dst_sel:WORD_1 dst_unused:UNUSED_PAD src0_sel:DWORD src1_sel:DWORD
	s_waitcnt lgkmcnt(0)
	v_cmp_eq_u16_e32 vcc_lo, v0, v5
	v_cndmask_b32_e64 v0, 0, 1, vcc_lo
	v_or_b32_e32 v0, v0, v3
	v_or_b32_sdwa v11, v0, v1 dst_sel:DWORD dst_unused:UNUSED_PAD src0_sel:WORD_0 src1_sel:DWORD
.LBB0_7:
	s_or_b32 exec_lo, exec_lo, s0
.LBB0_8:
	s_waitcnt vmcnt(0)
	v_mov_b32_e32 v1, 0
	s_lshl_b64 s[0:1], s[4:5], 3
	v_lshlrev_b32_e32 v4, 3, v7
	v_and_b32_e32 v0, 0xff, v11
	v_bfe_u32 v2, v11, 8, 8
	v_mov_b32_e32 v3, v1
	s_add_u32 s0, s2, s0
	s_addc_u32 s1, s3, s1
	global_store_dwordx4 v4, v[0:3], s[0:1]
	v_lshrrev_b32_e32 v2, 24, v11
	v_bfe_u32 v0, v11, 16, 8
	global_store_dwordx4 v4, v[0:3], s[0:1] offset:16
	v_and_b32_e32 v0, 0xff, v9
	v_bfe_u32 v2, v9, 8, 8
	global_store_dwordx4 v4, v[0:3], s[0:1] offset:32
	v_lshrrev_b32_e32 v2, 24, v9
	v_bfe_u32 v0, v9, 16, 8
	global_store_dwordx4 v4, v[0:3], s[0:1] offset:48
	v_and_b32_e32 v0, 0xff, v10
	global_store_dwordx2 v4, v[0:1], s[0:1] offset:64
	s_endpgm
	.section	.rodata,"a",@progbits
	.p2align	6, 0x0
	.amdhsa_kernel _Z17flag_heads_kernelIsb15custom_flag_op1IsELj234ELj9EEvPT_Px
		.amdhsa_group_segment_fixed_size 936
		.amdhsa_private_segment_fixed_size 0
		.amdhsa_kernarg_size 16
		.amdhsa_user_sgpr_count 6
		.amdhsa_user_sgpr_private_segment_buffer 1
		.amdhsa_user_sgpr_dispatch_ptr 0
		.amdhsa_user_sgpr_queue_ptr 0
		.amdhsa_user_sgpr_kernarg_segment_ptr 1
		.amdhsa_user_sgpr_dispatch_id 0
		.amdhsa_user_sgpr_flat_scratch_init 0
		.amdhsa_user_sgpr_private_segment_size 0
		.amdhsa_wavefront_size32 1
		.amdhsa_uses_dynamic_stack 0
		.amdhsa_system_sgpr_private_segment_wavefront_offset 0
		.amdhsa_system_sgpr_workgroup_id_x 1
		.amdhsa_system_sgpr_workgroup_id_y 0
		.amdhsa_system_sgpr_workgroup_id_z 0
		.amdhsa_system_sgpr_workgroup_info 0
		.amdhsa_system_vgpr_workitem_id 0
		.amdhsa_next_free_vgpr 17
		.amdhsa_next_free_sgpr 10
		.amdhsa_reserve_vcc 1
		.amdhsa_reserve_flat_scratch 0
		.amdhsa_float_round_mode_32 0
		.amdhsa_float_round_mode_16_64 0
		.amdhsa_float_denorm_mode_32 3
		.amdhsa_float_denorm_mode_16_64 3
		.amdhsa_dx10_clamp 1
		.amdhsa_ieee_mode 1
		.amdhsa_fp16_overflow 0
		.amdhsa_workgroup_processor_mode 1
		.amdhsa_memory_ordered 1
		.amdhsa_forward_progress 1
		.amdhsa_shared_vgpr_count 0
		.amdhsa_exception_fp_ieee_invalid_op 0
		.amdhsa_exception_fp_denorm_src 0
		.amdhsa_exception_fp_ieee_div_zero 0
		.amdhsa_exception_fp_ieee_overflow 0
		.amdhsa_exception_fp_ieee_underflow 0
		.amdhsa_exception_fp_ieee_inexact 0
		.amdhsa_exception_int_div_zero 0
	.end_amdhsa_kernel
	.section	.text._Z17flag_heads_kernelIsb15custom_flag_op1IsELj234ELj9EEvPT_Px,"axG",@progbits,_Z17flag_heads_kernelIsb15custom_flag_op1IsELj234ELj9EEvPT_Px,comdat
.Lfunc_end0:
	.size	_Z17flag_heads_kernelIsb15custom_flag_op1IsELj234ELj9EEvPT_Px, .Lfunc_end0-_Z17flag_heads_kernelIsb15custom_flag_op1IsELj234ELj9EEvPT_Px
                                        ; -- End function
	.set _Z17flag_heads_kernelIsb15custom_flag_op1IsELj234ELj9EEvPT_Px.num_vgpr, 17
	.set _Z17flag_heads_kernelIsb15custom_flag_op1IsELj234ELj9EEvPT_Px.num_agpr, 0
	.set _Z17flag_heads_kernelIsb15custom_flag_op1IsELj234ELj9EEvPT_Px.numbered_sgpr, 10
	.set _Z17flag_heads_kernelIsb15custom_flag_op1IsELj234ELj9EEvPT_Px.num_named_barrier, 0
	.set _Z17flag_heads_kernelIsb15custom_flag_op1IsELj234ELj9EEvPT_Px.private_seg_size, 0
	.set _Z17flag_heads_kernelIsb15custom_flag_op1IsELj234ELj9EEvPT_Px.uses_vcc, 1
	.set _Z17flag_heads_kernelIsb15custom_flag_op1IsELj234ELj9EEvPT_Px.uses_flat_scratch, 0
	.set _Z17flag_heads_kernelIsb15custom_flag_op1IsELj234ELj9EEvPT_Px.has_dyn_sized_stack, 0
	.set _Z17flag_heads_kernelIsb15custom_flag_op1IsELj234ELj9EEvPT_Px.has_recursion, 0
	.set _Z17flag_heads_kernelIsb15custom_flag_op1IsELj234ELj9EEvPT_Px.has_indirect_call, 0
	.section	.AMDGPU.csdata,"",@progbits
; Kernel info:
; codeLenInByte = 932
; TotalNumSgprs: 12
; NumVgprs: 17
; ScratchSize: 0
; MemoryBound: 0
; FloatMode: 240
; IeeeMode: 1
; LDSByteSize: 936 bytes/workgroup (compile time only)
; SGPRBlocks: 0
; VGPRBlocks: 2
; NumSGPRsForWavesPerEU: 12
; NumVGPRsForWavesPerEU: 17
; Occupancy: 16
; WaveLimiterHint : 0
; COMPUTE_PGM_RSRC2:SCRATCH_EN: 0
; COMPUTE_PGM_RSRC2:USER_SGPR: 6
; COMPUTE_PGM_RSRC2:TRAP_HANDLER: 0
; COMPUTE_PGM_RSRC2:TGID_X_EN: 1
; COMPUTE_PGM_RSRC2:TGID_Y_EN: 0
; COMPUTE_PGM_RSRC2:TGID_Z_EN: 0
; COMPUTE_PGM_RSRC2:TIDIG_COMP_CNT: 0
	.section	.text._Z17flag_heads_kernelItiN10test_utils7greaterELj100ELj3EEvPT_Px,"axG",@progbits,_Z17flag_heads_kernelItiN10test_utils7greaterELj100ELj3EEvPT_Px,comdat
	.protected	_Z17flag_heads_kernelItiN10test_utils7greaterELj100ELj3EEvPT_Px ; -- Begin function _Z17flag_heads_kernelItiN10test_utils7greaterELj100ELj3EEvPT_Px
	.globl	_Z17flag_heads_kernelItiN10test_utils7greaterELj100ELj3EEvPT_Px
	.p2align	8
	.type	_Z17flag_heads_kernelItiN10test_utils7greaterELj100ELj3EEvPT_Px,@function
_Z17flag_heads_kernelItiN10test_utils7greaterELj100ELj3EEvPT_Px: ; @_Z17flag_heads_kernelItiN10test_utils7greaterELj100ELj3EEvPT_Px
; %bb.0:
	s_load_dwordx4 s[0:3], s[4:5], 0x0
	v_mul_u32_u24_e32 v2, 3, v0
	s_mov_b32 s5, 0
	s_mul_i32 s4, s6, 0x12c
	v_lshlrev_b32_e32 v6, 1, v0
	s_lshl_b64 s[8:9], s[4:5], 1
	v_lshlrev_b32_e32 v1, 1, v2
	v_cmp_ne_u32_e32 vcc_lo, 0, v0
	s_waitcnt lgkmcnt(0)
	s_add_u32 s8, s0, s8
	s_addc_u32 s9, s1, s9
	s_bitcmp0_b32 s6, 0
	s_clause 0x1
	global_load_ushort v7, v1, s[8:9] offset:4
	global_load_dword v4, v1, s[8:9]
	v_mov_b32_e32 v1, 0
	s_cbranch_scc1 .LBB1_4
; %bb.1:
	s_add_i32 s6, s4, -1
	s_mov_b32 s7, s5
	s_waitcnt vmcnt(1)
	ds_write_b16 v6, v7
	s_lshl_b64 s[6:7], s[6:7], 1
	s_add_u32 s0, s0, s6
	s_addc_u32 s1, s1, s7
	global_load_ushort v1, v1, s[0:1]
	s_waitcnt vmcnt(0) lgkmcnt(0)
	s_barrier
	buffer_gl0_inv
	s_and_saveexec_b32 s0, vcc_lo
; %bb.2:
	v_add_nc_u32_e32 v1, -2, v6
	ds_read_u16 v1, v1
; %bb.3:
	s_or_b32 exec_lo, exec_lo, s0
	v_cmp_gt_u16_sdwa s0, v4, v7 src0_sel:WORD_1 src1_sel:DWORD
	s_waitcnt lgkmcnt(0)
	v_cmp_gt_u16_e32 vcc_lo, v1, v4
	v_cndmask_b32_e64 v5, 0, 1, s0
	v_cmp_gt_u16_sdwa s0, v4, v4 src0_sel:DWORD src1_sel:WORD_1
	v_cndmask_b32_e64 v1, 0, 1, vcc_lo
	v_cndmask_b32_e64 v3, 0, 1, s0
	s_branch .LBB1_8
.LBB1_4:
                                        ; implicit-def: $vgpr5
                                        ; implicit-def: $vgpr3
	s_cbranch_execz .LBB1_8
; %bb.5:
	v_mov_b32_e32 v1, 1
	s_waitcnt vmcnt(0)
	v_cmp_gt_u16_sdwa s0, v4, v7 src0_sel:WORD_1 src1_sel:DWORD
	v_cmp_gt_u16_sdwa s1, v4, v4 src0_sel:DWORD src1_sel:WORD_1
	s_mov_b32 s6, exec_lo
	ds_write_b16 v6, v7
	s_waitcnt lgkmcnt(0)
	s_barrier
	buffer_gl0_inv
	v_cmpx_ne_u32_e32 0, v0
	s_cbranch_execz .LBB1_7
; %bb.6:
	v_add_nc_u32_e32 v0, -2, v6
	ds_read_u16 v0, v0
	s_waitcnt lgkmcnt(0)
	v_cmp_gt_u16_e32 vcc_lo, v0, v4
	v_cndmask_b32_e64 v1, 0, 1, vcc_lo
.LBB1_7:
	s_or_b32 exec_lo, exec_lo, s6
	v_cndmask_b32_e64 v5, 0, 1, s0
	v_cndmask_b32_e64 v3, 0, 1, s1
.LBB1_8:
	s_lshl_b64 s[0:1], s[4:5], 3
	v_lshlrev_b32_e32 v0, 3, v2
	v_ashrrev_i32_e32 v2, 31, v1
	s_waitcnt vmcnt(0)
	v_ashrrev_i32_e32 v4, 31, v3
	v_ashrrev_i32_e32 v6, 31, v5
	s_add_u32 s0, s2, s0
	s_addc_u32 s1, s3, s1
	global_store_dwordx4 v0, v[1:4], s[0:1]
	global_store_dwordx2 v0, v[5:6], s[0:1] offset:16
	s_endpgm
	.section	.rodata,"a",@progbits
	.p2align	6, 0x0
	.amdhsa_kernel _Z17flag_heads_kernelItiN10test_utils7greaterELj100ELj3EEvPT_Px
		.amdhsa_group_segment_fixed_size 400
		.amdhsa_private_segment_fixed_size 0
		.amdhsa_kernarg_size 16
		.amdhsa_user_sgpr_count 6
		.amdhsa_user_sgpr_private_segment_buffer 1
		.amdhsa_user_sgpr_dispatch_ptr 0
		.amdhsa_user_sgpr_queue_ptr 0
		.amdhsa_user_sgpr_kernarg_segment_ptr 1
		.amdhsa_user_sgpr_dispatch_id 0
		.amdhsa_user_sgpr_flat_scratch_init 0
		.amdhsa_user_sgpr_private_segment_size 0
		.amdhsa_wavefront_size32 1
		.amdhsa_uses_dynamic_stack 0
		.amdhsa_system_sgpr_private_segment_wavefront_offset 0
		.amdhsa_system_sgpr_workgroup_id_x 1
		.amdhsa_system_sgpr_workgroup_id_y 0
		.amdhsa_system_sgpr_workgroup_id_z 0
		.amdhsa_system_sgpr_workgroup_info 0
		.amdhsa_system_vgpr_workitem_id 0
		.amdhsa_next_free_vgpr 8
		.amdhsa_next_free_sgpr 10
		.amdhsa_reserve_vcc 1
		.amdhsa_reserve_flat_scratch 0
		.amdhsa_float_round_mode_32 0
		.amdhsa_float_round_mode_16_64 0
		.amdhsa_float_denorm_mode_32 3
		.amdhsa_float_denorm_mode_16_64 3
		.amdhsa_dx10_clamp 1
		.amdhsa_ieee_mode 1
		.amdhsa_fp16_overflow 0
		.amdhsa_workgroup_processor_mode 1
		.amdhsa_memory_ordered 1
		.amdhsa_forward_progress 1
		.amdhsa_shared_vgpr_count 0
		.amdhsa_exception_fp_ieee_invalid_op 0
		.amdhsa_exception_fp_denorm_src 0
		.amdhsa_exception_fp_ieee_div_zero 0
		.amdhsa_exception_fp_ieee_overflow 0
		.amdhsa_exception_fp_ieee_underflow 0
		.amdhsa_exception_fp_ieee_inexact 0
		.amdhsa_exception_int_div_zero 0
	.end_amdhsa_kernel
	.section	.text._Z17flag_heads_kernelItiN10test_utils7greaterELj100ELj3EEvPT_Px,"axG",@progbits,_Z17flag_heads_kernelItiN10test_utils7greaterELj100ELj3EEvPT_Px,comdat
.Lfunc_end1:
	.size	_Z17flag_heads_kernelItiN10test_utils7greaterELj100ELj3EEvPT_Px, .Lfunc_end1-_Z17flag_heads_kernelItiN10test_utils7greaterELj100ELj3EEvPT_Px
                                        ; -- End function
	.set _Z17flag_heads_kernelItiN10test_utils7greaterELj100ELj3EEvPT_Px.num_vgpr, 8
	.set _Z17flag_heads_kernelItiN10test_utils7greaterELj100ELj3EEvPT_Px.num_agpr, 0
	.set _Z17flag_heads_kernelItiN10test_utils7greaterELj100ELj3EEvPT_Px.numbered_sgpr, 10
	.set _Z17flag_heads_kernelItiN10test_utils7greaterELj100ELj3EEvPT_Px.num_named_barrier, 0
	.set _Z17flag_heads_kernelItiN10test_utils7greaterELj100ELj3EEvPT_Px.private_seg_size, 0
	.set _Z17flag_heads_kernelItiN10test_utils7greaterELj100ELj3EEvPT_Px.uses_vcc, 1
	.set _Z17flag_heads_kernelItiN10test_utils7greaterELj100ELj3EEvPT_Px.uses_flat_scratch, 0
	.set _Z17flag_heads_kernelItiN10test_utils7greaterELj100ELj3EEvPT_Px.has_dyn_sized_stack, 0
	.set _Z17flag_heads_kernelItiN10test_utils7greaterELj100ELj3EEvPT_Px.has_recursion, 0
	.set _Z17flag_heads_kernelItiN10test_utils7greaterELj100ELj3EEvPT_Px.has_indirect_call, 0
	.section	.AMDGPU.csdata,"",@progbits
; Kernel info:
; codeLenInByte = 376
; TotalNumSgprs: 12
; NumVgprs: 8
; ScratchSize: 0
; MemoryBound: 0
; FloatMode: 240
; IeeeMode: 1
; LDSByteSize: 400 bytes/workgroup (compile time only)
; SGPRBlocks: 0
; VGPRBlocks: 0
; NumSGPRsForWavesPerEU: 12
; NumVGPRsForWavesPerEU: 8
; Occupancy: 16
; WaveLimiterHint : 0
; COMPUTE_PGM_RSRC2:SCRATCH_EN: 0
; COMPUTE_PGM_RSRC2:USER_SGPR: 6
; COMPUTE_PGM_RSRC2:TRAP_HANDLER: 0
; COMPUTE_PGM_RSRC2:TGID_X_EN: 1
; COMPUTE_PGM_RSRC2:TGID_Y_EN: 0
; COMPUTE_PGM_RSRC2:TGID_Z_EN: 0
; COMPUTE_PGM_RSRC2:TIDIG_COMP_CNT: 0
	.section	.text._Z17flag_heads_kernelI12hip_bfloat16jN10test_utils7greaterELj464ELj2EEvPT_Px,"axG",@progbits,_Z17flag_heads_kernelI12hip_bfloat16jN10test_utils7greaterELj464ELj2EEvPT_Px,comdat
	.protected	_Z17flag_heads_kernelI12hip_bfloat16jN10test_utils7greaterELj464ELj2EEvPT_Px ; -- Begin function _Z17flag_heads_kernelI12hip_bfloat16jN10test_utils7greaterELj464ELj2EEvPT_Px
	.globl	_Z17flag_heads_kernelI12hip_bfloat16jN10test_utils7greaterELj464ELj2EEvPT_Px
	.p2align	8
	.type	_Z17flag_heads_kernelI12hip_bfloat16jN10test_utils7greaterELj464ELj2EEvPT_Px,@function
_Z17flag_heads_kernelI12hip_bfloat16jN10test_utils7greaterELj464ELj2EEvPT_Px: ; @_Z17flag_heads_kernelI12hip_bfloat16jN10test_utils7greaterELj464ELj2EEvPT_Px
; %bb.0:
	s_load_dwordx4 s[0:3], s[4:5], 0x0
	s_mov_b32 s5, 0
	s_mul_i32 s4, s6, 0x3a0
	v_lshlrev_b32_e32 v1, 2, v0
	s_lshl_b64 s[8:9], s[4:5], 1
	v_lshlrev_b32_e32 v4, 1, v0
	v_cmp_ne_u32_e32 vcc_lo, 0, v0
	s_waitcnt lgkmcnt(0)
	s_add_u32 s8, s0, s8
	s_addc_u32 s9, s1, s9
	s_bitcmp0_b32 s6, 0
	global_load_dword v5, v1, s[8:9]
	v_mov_b32_e32 v1, 0
	s_waitcnt vmcnt(0)
	v_lshrrev_b32_e32 v2, 16, v5
	s_cbranch_scc1 .LBB2_4
; %bb.1:
	s_add_i32 s6, s4, -1
	s_mov_b32 s7, s5
	ds_write_b16 v4, v2
	s_lshl_b64 s[6:7], s[6:7], 1
	s_add_u32 s0, s0, s6
	s_addc_u32 s1, s1, s7
	global_load_ushort v1, v1, s[0:1]
	s_waitcnt vmcnt(0) lgkmcnt(0)
	s_barrier
	buffer_gl0_inv
	s_and_saveexec_b32 s0, vcc_lo
; %bb.2:
	v_add_nc_u32_e32 v1, -2, v4
	ds_read_u16 v1, v1
; %bb.3:
	s_or_b32 exec_lo, exec_lo, s0
	v_mov_b32_e32 v3, 16
	v_lshlrev_b32_e32 v6, 16, v2
	s_waitcnt lgkmcnt(0)
	v_lshlrev_b32_e32 v1, 16, v1
	v_lshlrev_b32_sdwa v7, v3, v5 dst_sel:DWORD dst_unused:UNUSED_PAD src0_sel:DWORD src1_sel:WORD_0
	v_cmp_lt_f32_e32 vcc_lo, v6, v7
	v_cndmask_b32_e64 v3, 0, 1, vcc_lo
	v_cmp_lt_f32_e32 vcc_lo, v7, v1
	v_cndmask_b32_e64 v1, 0, 1, vcc_lo
	s_branch .LBB2_8
.LBB2_4:
                                        ; implicit-def: $vgpr3
	s_cbranch_execz .LBB2_8
; %bb.5:
	v_mov_b32_e32 v1, 16
	v_lshlrev_b32_e32 v6, 16, v2
	s_mov_b32 s1, exec_lo
	ds_write_b16 v4, v2
	s_waitcnt lgkmcnt(0)
	v_lshlrev_b32_sdwa v3, v1, v5 dst_sel:DWORD dst_unused:UNUSED_PAD src0_sel:DWORD src1_sel:WORD_0
	v_mov_b32_e32 v1, 1
	s_barrier
	buffer_gl0_inv
	v_cmp_lt_f32_e32 vcc_lo, v6, v3
	v_cmpx_ne_u32_e32 0, v0
	s_cbranch_execz .LBB2_7
; %bb.6:
	v_add_nc_u32_e32 v0, -2, v4
	ds_read_u16 v0, v0
	s_waitcnt lgkmcnt(0)
	v_lshlrev_b32_e32 v0, 16, v0
	v_cmp_lt_f32_e64 s0, v3, v0
	v_cndmask_b32_e64 v1, 0, 1, s0
.LBB2_7:
	s_or_b32 exec_lo, exec_lo, s1
	v_cndmask_b32_e64 v3, 0, 1, vcc_lo
.LBB2_8:
	v_mov_b32_e32 v2, 0
	s_lshl_b64 s[0:1], s[4:5], 3
	v_lshlrev_b32_e32 v0, 3, v4
	s_add_u32 s0, s2, s0
	s_addc_u32 s1, s3, s1
	v_mov_b32_e32 v4, v2
	global_store_dwordx4 v0, v[1:4], s[0:1]
	s_endpgm
	.section	.rodata,"a",@progbits
	.p2align	6, 0x0
	.amdhsa_kernel _Z17flag_heads_kernelI12hip_bfloat16jN10test_utils7greaterELj464ELj2EEvPT_Px
		.amdhsa_group_segment_fixed_size 1856
		.amdhsa_private_segment_fixed_size 0
		.amdhsa_kernarg_size 16
		.amdhsa_user_sgpr_count 6
		.amdhsa_user_sgpr_private_segment_buffer 1
		.amdhsa_user_sgpr_dispatch_ptr 0
		.amdhsa_user_sgpr_queue_ptr 0
		.amdhsa_user_sgpr_kernarg_segment_ptr 1
		.amdhsa_user_sgpr_dispatch_id 0
		.amdhsa_user_sgpr_flat_scratch_init 0
		.amdhsa_user_sgpr_private_segment_size 0
		.amdhsa_wavefront_size32 1
		.amdhsa_uses_dynamic_stack 0
		.amdhsa_system_sgpr_private_segment_wavefront_offset 0
		.amdhsa_system_sgpr_workgroup_id_x 1
		.amdhsa_system_sgpr_workgroup_id_y 0
		.amdhsa_system_sgpr_workgroup_id_z 0
		.amdhsa_system_sgpr_workgroup_info 0
		.amdhsa_system_vgpr_workitem_id 0
		.amdhsa_next_free_vgpr 8
		.amdhsa_next_free_sgpr 10
		.amdhsa_reserve_vcc 1
		.amdhsa_reserve_flat_scratch 0
		.amdhsa_float_round_mode_32 0
		.amdhsa_float_round_mode_16_64 0
		.amdhsa_float_denorm_mode_32 3
		.amdhsa_float_denorm_mode_16_64 3
		.amdhsa_dx10_clamp 1
		.amdhsa_ieee_mode 1
		.amdhsa_fp16_overflow 0
		.amdhsa_workgroup_processor_mode 1
		.amdhsa_memory_ordered 1
		.amdhsa_forward_progress 1
		.amdhsa_shared_vgpr_count 0
		.amdhsa_exception_fp_ieee_invalid_op 0
		.amdhsa_exception_fp_denorm_src 0
		.amdhsa_exception_fp_ieee_div_zero 0
		.amdhsa_exception_fp_ieee_overflow 0
		.amdhsa_exception_fp_ieee_underflow 0
		.amdhsa_exception_fp_ieee_inexact 0
		.amdhsa_exception_int_div_zero 0
	.end_amdhsa_kernel
	.section	.text._Z17flag_heads_kernelI12hip_bfloat16jN10test_utils7greaterELj464ELj2EEvPT_Px,"axG",@progbits,_Z17flag_heads_kernelI12hip_bfloat16jN10test_utils7greaterELj464ELj2EEvPT_Px,comdat
.Lfunc_end2:
	.size	_Z17flag_heads_kernelI12hip_bfloat16jN10test_utils7greaterELj464ELj2EEvPT_Px, .Lfunc_end2-_Z17flag_heads_kernelI12hip_bfloat16jN10test_utils7greaterELj464ELj2EEvPT_Px
                                        ; -- End function
	.set _Z17flag_heads_kernelI12hip_bfloat16jN10test_utils7greaterELj464ELj2EEvPT_Px.num_vgpr, 8
	.set _Z17flag_heads_kernelI12hip_bfloat16jN10test_utils7greaterELj464ELj2EEvPT_Px.num_agpr, 0
	.set _Z17flag_heads_kernelI12hip_bfloat16jN10test_utils7greaterELj464ELj2EEvPT_Px.numbered_sgpr, 10
	.set _Z17flag_heads_kernelI12hip_bfloat16jN10test_utils7greaterELj464ELj2EEvPT_Px.num_named_barrier, 0
	.set _Z17flag_heads_kernelI12hip_bfloat16jN10test_utils7greaterELj464ELj2EEvPT_Px.private_seg_size, 0
	.set _Z17flag_heads_kernelI12hip_bfloat16jN10test_utils7greaterELj464ELj2EEvPT_Px.uses_vcc, 1
	.set _Z17flag_heads_kernelI12hip_bfloat16jN10test_utils7greaterELj464ELj2EEvPT_Px.uses_flat_scratch, 0
	.set _Z17flag_heads_kernelI12hip_bfloat16jN10test_utils7greaterELj464ELj2EEvPT_Px.has_dyn_sized_stack, 0
	.set _Z17flag_heads_kernelI12hip_bfloat16jN10test_utils7greaterELj464ELj2EEvPT_Px.has_recursion, 0
	.set _Z17flag_heads_kernelI12hip_bfloat16jN10test_utils7greaterELj464ELj2EEvPT_Px.has_indirect_call, 0
	.section	.AMDGPU.csdata,"",@progbits
; Kernel info:
; codeLenInByte = 348
; TotalNumSgprs: 12
; NumVgprs: 8
; ScratchSize: 0
; MemoryBound: 0
; FloatMode: 240
; IeeeMode: 1
; LDSByteSize: 1856 bytes/workgroup (compile time only)
; SGPRBlocks: 0
; VGPRBlocks: 0
; NumSGPRsForWavesPerEU: 12
; NumVGPRsForWavesPerEU: 8
; Occupancy: 16
; WaveLimiterHint : 0
; COMPUTE_PGM_RSRC2:SCRATCH_EN: 0
; COMPUTE_PGM_RSRC2:USER_SGPR: 6
; COMPUTE_PGM_RSRC2:TRAP_HANDLER: 0
; COMPUTE_PGM_RSRC2:TGID_X_EN: 1
; COMPUTE_PGM_RSRC2:TGID_Y_EN: 0
; COMPUTE_PGM_RSRC2:TGID_Z_EN: 0
; COMPUTE_PGM_RSRC2:TIDIG_COMP_CNT: 0
	.section	.text._Z17flag_heads_kernelI6__halfjN10test_utils7greaterELj464ELj2EEvPT_Px,"axG",@progbits,_Z17flag_heads_kernelI6__halfjN10test_utils7greaterELj464ELj2EEvPT_Px,comdat
	.protected	_Z17flag_heads_kernelI6__halfjN10test_utils7greaterELj464ELj2EEvPT_Px ; -- Begin function _Z17flag_heads_kernelI6__halfjN10test_utils7greaterELj464ELj2EEvPT_Px
	.globl	_Z17flag_heads_kernelI6__halfjN10test_utils7greaterELj464ELj2EEvPT_Px
	.p2align	8
	.type	_Z17flag_heads_kernelI6__halfjN10test_utils7greaterELj464ELj2EEvPT_Px,@function
_Z17flag_heads_kernelI6__halfjN10test_utils7greaterELj464ELj2EEvPT_Px: ; @_Z17flag_heads_kernelI6__halfjN10test_utils7greaterELj464ELj2EEvPT_Px
; %bb.0:
	s_load_dwordx4 s[0:3], s[4:5], 0x0
	s_mov_b32 s5, 0
	s_mul_i32 s4, s6, 0x3a0
	v_lshlrev_b32_e32 v1, 2, v0
	s_lshl_b64 s[8:9], s[4:5], 1
	v_lshlrev_b32_e32 v4, 1, v0
	v_cmp_ne_u32_e32 vcc_lo, 0, v0
	s_waitcnt lgkmcnt(0)
	s_add_u32 s8, s0, s8
	s_addc_u32 s9, s1, s9
	s_bitcmp0_b32 s6, 0
	global_load_dword v2, v1, s[8:9]
	v_mov_b32_e32 v1, 0
	s_waitcnt vmcnt(0)
	v_lshrrev_b32_e32 v5, 16, v2
	s_cbranch_scc1 .LBB3_4
; %bb.1:
	s_add_i32 s6, s4, -1
	s_mov_b32 s7, s5
	ds_write_b16 v4, v5
	s_lshl_b64 s[6:7], s[6:7], 1
	s_add_u32 s0, s0, s6
	s_addc_u32 s1, s1, s7
	global_load_ushort v1, v1, s[0:1]
	s_waitcnt vmcnt(0) lgkmcnt(0)
	s_barrier
	buffer_gl0_inv
	s_and_saveexec_b32 s0, vcc_lo
; %bb.2:
	v_add_nc_u32_e32 v1, -2, v4
	ds_read_u16 v1, v1
; %bb.3:
	s_or_b32 exec_lo, exec_lo, s0
	v_cmp_gt_f16_e32 vcc_lo, v2, v5
	v_cndmask_b32_e64 v3, 0, 1, vcc_lo
	s_waitcnt lgkmcnt(0)
	v_cmp_lt_f16_e32 vcc_lo, v2, v1
	v_cndmask_b32_e64 v1, 0, 1, vcc_lo
	s_branch .LBB3_8
.LBB3_4:
                                        ; implicit-def: $vgpr3
	s_cbranch_execz .LBB3_8
; %bb.5:
	v_mov_b32_e32 v1, 1
	s_mov_b32 s1, exec_lo
	v_cmp_gt_f16_e32 vcc_lo, v2, v5
	ds_write_b16 v4, v5
	s_waitcnt lgkmcnt(0)
	s_barrier
	buffer_gl0_inv
	v_cmpx_ne_u32_e32 0, v0
	s_cbranch_execz .LBB3_7
; %bb.6:
	v_add_nc_u32_e32 v0, -2, v4
	ds_read_u16 v0, v0
	s_waitcnt lgkmcnt(0)
	v_cmp_gt_f16_e64 s0, v0, v2
	v_cndmask_b32_e64 v1, 0, 1, s0
.LBB3_7:
	s_or_b32 exec_lo, exec_lo, s1
	v_cndmask_b32_e64 v3, 0, 1, vcc_lo
.LBB3_8:
	v_mov_b32_e32 v2, 0
	s_lshl_b64 s[0:1], s[4:5], 3
	v_lshlrev_b32_e32 v0, 3, v4
	s_add_u32 s0, s2, s0
	s_addc_u32 s1, s3, s1
	v_mov_b32_e32 v4, v2
	global_store_dwordx4 v0, v[1:4], s[0:1]
	s_endpgm
	.section	.rodata,"a",@progbits
	.p2align	6, 0x0
	.amdhsa_kernel _Z17flag_heads_kernelI6__halfjN10test_utils7greaterELj464ELj2EEvPT_Px
		.amdhsa_group_segment_fixed_size 1856
		.amdhsa_private_segment_fixed_size 0
		.amdhsa_kernarg_size 16
		.amdhsa_user_sgpr_count 6
		.amdhsa_user_sgpr_private_segment_buffer 1
		.amdhsa_user_sgpr_dispatch_ptr 0
		.amdhsa_user_sgpr_queue_ptr 0
		.amdhsa_user_sgpr_kernarg_segment_ptr 1
		.amdhsa_user_sgpr_dispatch_id 0
		.amdhsa_user_sgpr_flat_scratch_init 0
		.amdhsa_user_sgpr_private_segment_size 0
		.amdhsa_wavefront_size32 1
		.amdhsa_uses_dynamic_stack 0
		.amdhsa_system_sgpr_private_segment_wavefront_offset 0
		.amdhsa_system_sgpr_workgroup_id_x 1
		.amdhsa_system_sgpr_workgroup_id_y 0
		.amdhsa_system_sgpr_workgroup_id_z 0
		.amdhsa_system_sgpr_workgroup_info 0
		.amdhsa_system_vgpr_workitem_id 0
		.amdhsa_next_free_vgpr 6
		.amdhsa_next_free_sgpr 10
		.amdhsa_reserve_vcc 1
		.amdhsa_reserve_flat_scratch 0
		.amdhsa_float_round_mode_32 0
		.amdhsa_float_round_mode_16_64 0
		.amdhsa_float_denorm_mode_32 3
		.amdhsa_float_denorm_mode_16_64 3
		.amdhsa_dx10_clamp 1
		.amdhsa_ieee_mode 1
		.amdhsa_fp16_overflow 0
		.amdhsa_workgroup_processor_mode 1
		.amdhsa_memory_ordered 1
		.amdhsa_forward_progress 1
		.amdhsa_shared_vgpr_count 0
		.amdhsa_exception_fp_ieee_invalid_op 0
		.amdhsa_exception_fp_denorm_src 0
		.amdhsa_exception_fp_ieee_div_zero 0
		.amdhsa_exception_fp_ieee_overflow 0
		.amdhsa_exception_fp_ieee_underflow 0
		.amdhsa_exception_fp_ieee_inexact 0
		.amdhsa_exception_int_div_zero 0
	.end_amdhsa_kernel
	.section	.text._Z17flag_heads_kernelI6__halfjN10test_utils7greaterELj464ELj2EEvPT_Px,"axG",@progbits,_Z17flag_heads_kernelI6__halfjN10test_utils7greaterELj464ELj2EEvPT_Px,comdat
.Lfunc_end3:
	.size	_Z17flag_heads_kernelI6__halfjN10test_utils7greaterELj464ELj2EEvPT_Px, .Lfunc_end3-_Z17flag_heads_kernelI6__halfjN10test_utils7greaterELj464ELj2EEvPT_Px
                                        ; -- End function
	.set _Z17flag_heads_kernelI6__halfjN10test_utils7greaterELj464ELj2EEvPT_Px.num_vgpr, 6
	.set _Z17flag_heads_kernelI6__halfjN10test_utils7greaterELj464ELj2EEvPT_Px.num_agpr, 0
	.set _Z17flag_heads_kernelI6__halfjN10test_utils7greaterELj464ELj2EEvPT_Px.numbered_sgpr, 10
	.set _Z17flag_heads_kernelI6__halfjN10test_utils7greaterELj464ELj2EEvPT_Px.num_named_barrier, 0
	.set _Z17flag_heads_kernelI6__halfjN10test_utils7greaterELj464ELj2EEvPT_Px.private_seg_size, 0
	.set _Z17flag_heads_kernelI6__halfjN10test_utils7greaterELj464ELj2EEvPT_Px.uses_vcc, 1
	.set _Z17flag_heads_kernelI6__halfjN10test_utils7greaterELj464ELj2EEvPT_Px.uses_flat_scratch, 0
	.set _Z17flag_heads_kernelI6__halfjN10test_utils7greaterELj464ELj2EEvPT_Px.has_dyn_sized_stack, 0
	.set _Z17flag_heads_kernelI6__halfjN10test_utils7greaterELj464ELj2EEvPT_Px.has_recursion, 0
	.set _Z17flag_heads_kernelI6__halfjN10test_utils7greaterELj464ELj2EEvPT_Px.has_indirect_call, 0
	.section	.AMDGPU.csdata,"",@progbits
; Kernel info:
; codeLenInByte = 308
; TotalNumSgprs: 12
; NumVgprs: 6
; ScratchSize: 0
; MemoryBound: 0
; FloatMode: 240
; IeeeMode: 1
; LDSByteSize: 1856 bytes/workgroup (compile time only)
; SGPRBlocks: 0
; VGPRBlocks: 0
; NumSGPRsForWavesPerEU: 12
; NumVGPRsForWavesPerEU: 6
; Occupancy: 16
; WaveLimiterHint : 0
; COMPUTE_PGM_RSRC2:SCRATCH_EN: 0
; COMPUTE_PGM_RSRC2:USER_SGPR: 6
; COMPUTE_PGM_RSRC2:TRAP_HANDLER: 0
; COMPUTE_PGM_RSRC2:TGID_X_EN: 1
; COMPUTE_PGM_RSRC2:TGID_Y_EN: 0
; COMPUTE_PGM_RSRC2:TGID_Z_EN: 0
; COMPUTE_PGM_RSRC2:TIDIG_COMP_CNT: 0
	.section	.text._Z17flag_heads_kernelIdjN6hipcub8EqualityELj464ELj2EEvPT_Px,"axG",@progbits,_Z17flag_heads_kernelIdjN6hipcub8EqualityELj464ELj2EEvPT_Px,comdat
	.protected	_Z17flag_heads_kernelIdjN6hipcub8EqualityELj464ELj2EEvPT_Px ; -- Begin function _Z17flag_heads_kernelIdjN6hipcub8EqualityELj464ELj2EEvPT_Px
	.globl	_Z17flag_heads_kernelIdjN6hipcub8EqualityELj464ELj2EEvPT_Px
	.p2align	8
	.type	_Z17flag_heads_kernelIdjN6hipcub8EqualityELj464ELj2EEvPT_Px,@function
_Z17flag_heads_kernelIdjN6hipcub8EqualityELj464ELj2EEvPT_Px: ; @_Z17flag_heads_kernelIdjN6hipcub8EqualityELj464ELj2EEvPT_Px
; %bb.0:
	s_load_dwordx4 s[0:3], s[4:5], 0x0
	s_mul_i32 s8, s6, 0x3a0
	s_mov_b32 s9, 0
	v_lshlrev_b32_e32 v1, 4, v0
	s_lshl_b64 s[4:5], s[8:9], 3
	v_lshlrev_b32_e32 v8, 1, v0
	v_lshlrev_b32_e32 v9, 3, v0
	v_cmp_ne_u32_e32 vcc_lo, 0, v0
	s_waitcnt lgkmcnt(0)
	s_add_u32 s10, s0, s4
	s_addc_u32 s11, s1, s5
	s_bitcmp0_b32 s6, 0
	global_load_dwordx4 v[1:4], v1, s[10:11]
	s_cbranch_scc1 .LBB4_4
; %bb.1:
	s_add_i32 s8, s8, -1
	s_waitcnt vmcnt(0)
	ds_write_b64 v9, v[3:4]
	s_lshl_b64 s[6:7], s[8:9], 3
	s_add_u32 s0, s0, s6
	s_addc_u32 s1, s1, s7
	s_load_dwordx2 s[0:1], s[0:1], 0x0
	s_waitcnt lgkmcnt(0)
	s_barrier
	buffer_gl0_inv
	v_mov_b32_e32 v6, s1
	v_mov_b32_e32 v5, s0
	s_and_saveexec_b32 s0, vcc_lo
; %bb.2:
	v_add_nc_u32_e32 v5, -8, v9
	ds_read_b64 v[5:6], v5
; %bb.3:
	s_or_b32 exec_lo, exec_lo, s0
	v_cmp_eq_f64_e32 vcc_lo, v[1:2], v[3:4]
	v_cndmask_b32_e64 v7, 0, 1, vcc_lo
	s_waitcnt lgkmcnt(0)
	v_cmp_eq_f64_e32 vcc_lo, v[5:6], v[1:2]
	v_cndmask_b32_e64 v5, 0, 1, vcc_lo
	s_branch .LBB4_8
.LBB4_4:
                                        ; implicit-def: $vgpr7
	s_cbranch_execz .LBB4_8
; %bb.5:
	v_mov_b32_e32 v5, 1
	s_mov_b32 s1, exec_lo
	s_waitcnt vmcnt(0)
	v_cmp_eq_f64_e32 vcc_lo, v[1:2], v[3:4]
	ds_write_b64 v9, v[3:4]
	s_waitcnt lgkmcnt(0)
	s_barrier
	buffer_gl0_inv
	v_cmpx_ne_u32_e32 0, v0
	s_cbranch_execz .LBB4_7
; %bb.6:
	v_add_nc_u32_e32 v0, -8, v9
	ds_read_b64 v[3:4], v0
	s_waitcnt lgkmcnt(0)
	v_cmp_eq_f64_e64 s0, v[3:4], v[1:2]
	v_cndmask_b32_e64 v5, 0, 1, s0
.LBB4_7:
	s_or_b32 exec_lo, exec_lo, s1
	v_cndmask_b32_e64 v7, 0, 1, vcc_lo
.LBB4_8:
	v_mov_b32_e32 v6, 0
	v_lshlrev_b32_e32 v0, 3, v8
	s_add_u32 s0, s2, s4
	s_addc_u32 s1, s3, s5
	v_mov_b32_e32 v8, v6
	global_store_dwordx4 v0, v[5:8], s[0:1]
	s_endpgm
	.section	.rodata,"a",@progbits
	.p2align	6, 0x0
	.amdhsa_kernel _Z17flag_heads_kernelIdjN6hipcub8EqualityELj464ELj2EEvPT_Px
		.amdhsa_group_segment_fixed_size 7424
		.amdhsa_private_segment_fixed_size 0
		.amdhsa_kernarg_size 16
		.amdhsa_user_sgpr_count 6
		.amdhsa_user_sgpr_private_segment_buffer 1
		.amdhsa_user_sgpr_dispatch_ptr 0
		.amdhsa_user_sgpr_queue_ptr 0
		.amdhsa_user_sgpr_kernarg_segment_ptr 1
		.amdhsa_user_sgpr_dispatch_id 0
		.amdhsa_user_sgpr_flat_scratch_init 0
		.amdhsa_user_sgpr_private_segment_size 0
		.amdhsa_wavefront_size32 1
		.amdhsa_uses_dynamic_stack 0
		.amdhsa_system_sgpr_private_segment_wavefront_offset 0
		.amdhsa_system_sgpr_workgroup_id_x 1
		.amdhsa_system_sgpr_workgroup_id_y 0
		.amdhsa_system_sgpr_workgroup_id_z 0
		.amdhsa_system_sgpr_workgroup_info 0
		.amdhsa_system_vgpr_workitem_id 0
		.amdhsa_next_free_vgpr 10
		.amdhsa_next_free_sgpr 12
		.amdhsa_reserve_vcc 1
		.amdhsa_reserve_flat_scratch 0
		.amdhsa_float_round_mode_32 0
		.amdhsa_float_round_mode_16_64 0
		.amdhsa_float_denorm_mode_32 3
		.amdhsa_float_denorm_mode_16_64 3
		.amdhsa_dx10_clamp 1
		.amdhsa_ieee_mode 1
		.amdhsa_fp16_overflow 0
		.amdhsa_workgroup_processor_mode 1
		.amdhsa_memory_ordered 1
		.amdhsa_forward_progress 1
		.amdhsa_shared_vgpr_count 0
		.amdhsa_exception_fp_ieee_invalid_op 0
		.amdhsa_exception_fp_denorm_src 0
		.amdhsa_exception_fp_ieee_div_zero 0
		.amdhsa_exception_fp_ieee_overflow 0
		.amdhsa_exception_fp_ieee_underflow 0
		.amdhsa_exception_fp_ieee_inexact 0
		.amdhsa_exception_int_div_zero 0
	.end_amdhsa_kernel
	.section	.text._Z17flag_heads_kernelIdjN6hipcub8EqualityELj464ELj2EEvPT_Px,"axG",@progbits,_Z17flag_heads_kernelIdjN6hipcub8EqualityELj464ELj2EEvPT_Px,comdat
.Lfunc_end4:
	.size	_Z17flag_heads_kernelIdjN6hipcub8EqualityELj464ELj2EEvPT_Px, .Lfunc_end4-_Z17flag_heads_kernelIdjN6hipcub8EqualityELj464ELj2EEvPT_Px
                                        ; -- End function
	.set _Z17flag_heads_kernelIdjN6hipcub8EqualityELj464ELj2EEvPT_Px.num_vgpr, 10
	.set _Z17flag_heads_kernelIdjN6hipcub8EqualityELj464ELj2EEvPT_Px.num_agpr, 0
	.set _Z17flag_heads_kernelIdjN6hipcub8EqualityELj464ELj2EEvPT_Px.numbered_sgpr, 12
	.set _Z17flag_heads_kernelIdjN6hipcub8EqualityELj464ELj2EEvPT_Px.num_named_barrier, 0
	.set _Z17flag_heads_kernelIdjN6hipcub8EqualityELj464ELj2EEvPT_Px.private_seg_size, 0
	.set _Z17flag_heads_kernelIdjN6hipcub8EqualityELj464ELj2EEvPT_Px.uses_vcc, 1
	.set _Z17flag_heads_kernelIdjN6hipcub8EqualityELj464ELj2EEvPT_Px.uses_flat_scratch, 0
	.set _Z17flag_heads_kernelIdjN6hipcub8EqualityELj464ELj2EEvPT_Px.has_dyn_sized_stack, 0
	.set _Z17flag_heads_kernelIdjN6hipcub8EqualityELj464ELj2EEvPT_Px.has_recursion, 0
	.set _Z17flag_heads_kernelIdjN6hipcub8EqualityELj464ELj2EEvPT_Px.has_indirect_call, 0
	.section	.AMDGPU.csdata,"",@progbits
; Kernel info:
; codeLenInByte = 308
; TotalNumSgprs: 14
; NumVgprs: 10
; ScratchSize: 0
; MemoryBound: 0
; FloatMode: 240
; IeeeMode: 1
; LDSByteSize: 7424 bytes/workgroup (compile time only)
; SGPRBlocks: 0
; VGPRBlocks: 1
; NumSGPRsForWavesPerEU: 14
; NumVGPRsForWavesPerEU: 10
; Occupancy: 15
; WaveLimiterHint : 0
; COMPUTE_PGM_RSRC2:SCRATCH_EN: 0
; COMPUTE_PGM_RSRC2:USER_SGPR: 6
; COMPUTE_PGM_RSRC2:TRAP_HANDLER: 0
; COMPUTE_PGM_RSRC2:TGID_X_EN: 1
; COMPUTE_PGM_RSRC2:TGID_Y_EN: 0
; COMPUTE_PGM_RSRC2:TGID_Z_EN: 0
; COMPUTE_PGM_RSRC2:TIDIG_COMP_CNT: 0
	.section	.text._Z17flag_heads_kernelIdi15custom_flag_op2IdELj33ELj5EEvPT_Px,"axG",@progbits,_Z17flag_heads_kernelIdi15custom_flag_op2IdELj33ELj5EEvPT_Px,comdat
	.protected	_Z17flag_heads_kernelIdi15custom_flag_op2IdELj33ELj5EEvPT_Px ; -- Begin function _Z17flag_heads_kernelIdi15custom_flag_op2IdELj33ELj5EEvPT_Px
	.globl	_Z17flag_heads_kernelIdi15custom_flag_op2IdELj33ELj5EEvPT_Px
	.p2align	8
	.type	_Z17flag_heads_kernelIdi15custom_flag_op2IdELj33ELj5EEvPT_Px,@function
_Z17flag_heads_kernelIdi15custom_flag_op2IdELj33ELj5EEvPT_Px: ; @_Z17flag_heads_kernelIdi15custom_flag_op2IdELj33ELj5EEvPT_Px
; %bb.0:
	s_load_dwordx4 s[8:11], s[4:5], 0x0
	v_mul_u32_u24_e32 v1, 5, v0
	s_mov_b32 s1, 0
	s_mul_i32 s0, s6, 0xa5
	v_lshlrev_b32_e32 v12, 3, v0
	s_lshl_b64 s[4:5], s[0:1], 3
	v_lshlrev_b32_e32 v20, 3, v1
	v_cmp_ne_u32_e32 vcc_lo, 0, v0
	s_waitcnt lgkmcnt(0)
	s_add_u32 s2, s8, s4
	s_addc_u32 s3, s9, s5
	s_bitcmp0_b32 s6, 0
	s_clause 0x2
	global_load_dwordx2 v[16:17], v20, s[2:3] offset:32
	global_load_dwordx4 v[5:8], v20, s[2:3] offset:16
	global_load_dwordx4 v[1:4], v20, s[2:3]
	s_cbranch_scc1 .LBB5_4
; %bb.1:
	s_add_i32 s0, s0, -1
	s_waitcnt vmcnt(2)
	ds_write_b64 v12, v[16:17]
	s_lshl_b64 s[0:1], s[0:1], 3
	s_add_u32 s0, s8, s0
	s_addc_u32 s1, s9, s1
	s_load_dwordx2 s[0:1], s[0:1], 0x0
	s_waitcnt vmcnt(0) lgkmcnt(0)
	s_barrier
	buffer_gl0_inv
	v_mov_b32_e32 v10, s1
	v_mov_b32_e32 v9, s0
	s_and_saveexec_b32 s0, vcc_lo
; %bb.2:
	v_add_nc_u32_e32 v9, -8, v12
	ds_read_b64 v[9:10], v9
; %bb.3:
	s_or_b32 exec_lo, exec_lo, s0
	v_add_f64 v[13:14], v[7:8], -v[16:17]
	v_add_f64 v[21:22], v[5:6], -v[7:8]
	v_add_f64 v[23:24], v[3:4], -v[5:6]
	v_add_f64 v[25:26], v[1:2], -v[3:4]
	s_waitcnt lgkmcnt(0)
	v_add_f64 v[9:10], v[9:10], -v[1:2]
	v_cmp_lt_f64_e32 vcc_lo, 0x40140000, v[13:14]
	v_cndmask_b32_e64 v18, 0, 1, vcc_lo
	v_cmp_lt_f64_e32 vcc_lo, 0x40140000, v[21:22]
	v_cndmask_b32_e64 v15, 0, 1, vcc_lo
	;; [unrolled: 2-line block ×5, first 2 shown]
	s_branch .LBB5_8
.LBB5_4:
                                        ; implicit-def: $vgpr18
                                        ; implicit-def: $vgpr15
                                        ; implicit-def: $vgpr11
	s_cbranch_execz .LBB5_8
; %bb.5:
	s_waitcnt vmcnt(1)
	v_add_f64 v[9:10], v[7:8], -v[16:17]
	v_add_f64 v[7:8], v[5:6], -v[7:8]
	s_waitcnt vmcnt(0)
	v_add_f64 v[5:6], v[3:4], -v[5:6]
	v_add_f64 v[3:4], v[1:2], -v[3:4]
	s_mov_b32 s6, exec_lo
	ds_write_b64 v12, v[16:17]
	s_waitcnt lgkmcnt(0)
	s_barrier
	buffer_gl0_inv
	v_cmp_lt_f64_e32 vcc_lo, 0x40140000, v[9:10]
	v_cmp_lt_f64_e64 s0, 0x40140000, v[7:8]
	v_cmp_lt_f64_e64 s1, 0x40140000, v[5:6]
	;; [unrolled: 1-line block ×3, first 2 shown]
	v_mov_b32_e32 v9, 1
	v_cmpx_ne_u32_e32 0, v0
	s_cbranch_execz .LBB5_7
; %bb.6:
	v_add_nc_u32_e32 v0, -8, v12
	ds_read_b64 v[3:4], v0
	s_waitcnt lgkmcnt(0)
	v_add_f64 v[0:1], v[3:4], -v[1:2]
	v_cmp_lt_f64_e64 s3, 0x40140000, v[0:1]
	v_cndmask_b32_e64 v9, 0, 1, s3
.LBB5_7:
	s_or_b32 exec_lo, exec_lo, s6
	v_cndmask_b32_e64 v18, 0, 1, vcc_lo
	v_cndmask_b32_e64 v15, 0, 1, s0
	v_cndmask_b32_e64 v13, 0, 1, s1
	;; [unrolled: 1-line block ×3, first 2 shown]
.LBB5_8:
	v_ashrrev_i32_e32 v10, 31, v9
	v_ashrrev_i32_e32 v12, 31, v11
	;; [unrolled: 1-line block ×3, first 2 shown]
	s_waitcnt vmcnt(2)
	v_ashrrev_i32_e32 v16, 31, v15
	s_add_u32 s0, s10, s4
	v_ashrrev_i32_e32 v19, 31, v18
	s_addc_u32 s1, s11, s5
	global_store_dwordx4 v20, v[9:12], s[0:1]
	global_store_dwordx4 v20, v[13:16], s[0:1] offset:16
	global_store_dwordx2 v20, v[18:19], s[0:1] offset:32
	s_endpgm
	.section	.rodata,"a",@progbits
	.p2align	6, 0x0
	.amdhsa_kernel _Z17flag_heads_kernelIdi15custom_flag_op2IdELj33ELj5EEvPT_Px
		.amdhsa_group_segment_fixed_size 528
		.amdhsa_private_segment_fixed_size 0
		.amdhsa_kernarg_size 16
		.amdhsa_user_sgpr_count 6
		.amdhsa_user_sgpr_private_segment_buffer 1
		.amdhsa_user_sgpr_dispatch_ptr 0
		.amdhsa_user_sgpr_queue_ptr 0
		.amdhsa_user_sgpr_kernarg_segment_ptr 1
		.amdhsa_user_sgpr_dispatch_id 0
		.amdhsa_user_sgpr_flat_scratch_init 0
		.amdhsa_user_sgpr_private_segment_size 0
		.amdhsa_wavefront_size32 1
		.amdhsa_uses_dynamic_stack 0
		.amdhsa_system_sgpr_private_segment_wavefront_offset 0
		.amdhsa_system_sgpr_workgroup_id_x 1
		.amdhsa_system_sgpr_workgroup_id_y 0
		.amdhsa_system_sgpr_workgroup_id_z 0
		.amdhsa_system_sgpr_workgroup_info 0
		.amdhsa_system_vgpr_workitem_id 0
		.amdhsa_next_free_vgpr 27
		.amdhsa_next_free_sgpr 12
		.amdhsa_reserve_vcc 1
		.amdhsa_reserve_flat_scratch 0
		.amdhsa_float_round_mode_32 0
		.amdhsa_float_round_mode_16_64 0
		.amdhsa_float_denorm_mode_32 3
		.amdhsa_float_denorm_mode_16_64 3
		.amdhsa_dx10_clamp 1
		.amdhsa_ieee_mode 1
		.amdhsa_fp16_overflow 0
		.amdhsa_workgroup_processor_mode 1
		.amdhsa_memory_ordered 1
		.amdhsa_forward_progress 1
		.amdhsa_shared_vgpr_count 0
		.amdhsa_exception_fp_ieee_invalid_op 0
		.amdhsa_exception_fp_denorm_src 0
		.amdhsa_exception_fp_ieee_div_zero 0
		.amdhsa_exception_fp_ieee_overflow 0
		.amdhsa_exception_fp_ieee_underflow 0
		.amdhsa_exception_fp_ieee_inexact 0
		.amdhsa_exception_int_div_zero 0
	.end_amdhsa_kernel
	.section	.text._Z17flag_heads_kernelIdi15custom_flag_op2IdELj33ELj5EEvPT_Px,"axG",@progbits,_Z17flag_heads_kernelIdi15custom_flag_op2IdELj33ELj5EEvPT_Px,comdat
.Lfunc_end5:
	.size	_Z17flag_heads_kernelIdi15custom_flag_op2IdELj33ELj5EEvPT_Px, .Lfunc_end5-_Z17flag_heads_kernelIdi15custom_flag_op2IdELj33ELj5EEvPT_Px
                                        ; -- End function
	.set _Z17flag_heads_kernelIdi15custom_flag_op2IdELj33ELj5EEvPT_Px.num_vgpr, 27
	.set _Z17flag_heads_kernelIdi15custom_flag_op2IdELj33ELj5EEvPT_Px.num_agpr, 0
	.set _Z17flag_heads_kernelIdi15custom_flag_op2IdELj33ELj5EEvPT_Px.numbered_sgpr, 12
	.set _Z17flag_heads_kernelIdi15custom_flag_op2IdELj33ELj5EEvPT_Px.num_named_barrier, 0
	.set _Z17flag_heads_kernelIdi15custom_flag_op2IdELj33ELj5EEvPT_Px.private_seg_size, 0
	.set _Z17flag_heads_kernelIdi15custom_flag_op2IdELj33ELj5EEvPT_Px.uses_vcc, 1
	.set _Z17flag_heads_kernelIdi15custom_flag_op2IdELj33ELj5EEvPT_Px.uses_flat_scratch, 0
	.set _Z17flag_heads_kernelIdi15custom_flag_op2IdELj33ELj5EEvPT_Px.has_dyn_sized_stack, 0
	.set _Z17flag_heads_kernelIdi15custom_flag_op2IdELj33ELj5EEvPT_Px.has_recursion, 0
	.set _Z17flag_heads_kernelIdi15custom_flag_op2IdELj33ELj5EEvPT_Px.has_indirect_call, 0
	.section	.AMDGPU.csdata,"",@progbits
; Kernel info:
; codeLenInByte = 564
; TotalNumSgprs: 14
; NumVgprs: 27
; ScratchSize: 0
; MemoryBound: 0
; FloatMode: 240
; IeeeMode: 1
; LDSByteSize: 528 bytes/workgroup (compile time only)
; SGPRBlocks: 0
; VGPRBlocks: 3
; NumSGPRsForWavesPerEU: 14
; NumVGPRsForWavesPerEU: 27
; Occupancy: 16
; WaveLimiterHint : 0
; COMPUTE_PGM_RSRC2:SCRATCH_EN: 0
; COMPUTE_PGM_RSRC2:USER_SGPR: 6
; COMPUTE_PGM_RSRC2:TRAP_HANDLER: 0
; COMPUTE_PGM_RSRC2:TGID_X_EN: 1
; COMPUTE_PGM_RSRC2:TGID_Y_EN: 0
; COMPUTE_PGM_RSRC2:TGID_Z_EN: 0
; COMPUTE_PGM_RSRC2:TIDIG_COMP_CNT: 0
	.section	.text._Z17flag_heads_kernelIssN6hipcub8EqualityELj512ELj8EEvPT_Px,"axG",@progbits,_Z17flag_heads_kernelIssN6hipcub8EqualityELj512ELj8EEvPT_Px,comdat
	.protected	_Z17flag_heads_kernelIssN6hipcub8EqualityELj512ELj8EEvPT_Px ; -- Begin function _Z17flag_heads_kernelIssN6hipcub8EqualityELj512ELj8EEvPT_Px
	.globl	_Z17flag_heads_kernelIssN6hipcub8EqualityELj512ELj8EEvPT_Px
	.p2align	8
	.type	_Z17flag_heads_kernelIssN6hipcub8EqualityELj512ELj8EEvPT_Px,@function
_Z17flag_heads_kernelIssN6hipcub8EqualityELj512ELj8EEvPT_Px: ; @_Z17flag_heads_kernelIssN6hipcub8EqualityELj512ELj8EEvPT_Px
; %bb.0:
	s_load_dwordx4 s[0:3], s[4:5], 0x0
	s_mov_b32 s5, 0
	s_lshl_b32 s4, s6, 12
	v_lshlrev_b32_e32 v1, 4, v0
	s_lshl_b64 s[8:9], s[4:5], 1
	v_lshlrev_b32_e32 v3, 3, v0
	v_mov_b32_e32 v7, 0
	v_lshlrev_b32_e32 v5, 1, v0
	v_cmp_ne_u32_e32 vcc_lo, 0, v0
	s_waitcnt lgkmcnt(0)
	s_add_u32 s8, s0, s8
	s_addc_u32 s9, s1, s9
	s_bitcmp0_b32 s6, 0
	s_clause 0x3
	global_load_dword v4, v1, s[8:9]
	global_load_dword v9, v1, s[8:9] offset:10
	global_load_ushort v6, v1, s[8:9] offset:14
	global_load_dwordx2 v[1:2], v1, s[8:9] offset:2
	s_cbranch_scc1 .LBB6_4
; %bb.1:
	s_add_i32 s6, s4, -1
	s_mov_b32 s7, s5
	s_waitcnt vmcnt(1)
	ds_write_b16 v5, v6
	s_lshl_b64 s[6:7], s[6:7], 1
	s_add_u32 s0, s0, s6
	s_addc_u32 s1, s1, s7
	global_load_ushort v7, v7, s[0:1]
	s_waitcnt vmcnt(0) lgkmcnt(0)
	s_barrier
	buffer_gl0_inv
	s_and_saveexec_b32 s0, vcc_lo
; %bb.2:
	v_add_nc_u32_e32 v7, -2, v5
	ds_read_u16 v7, v7
; %bb.3:
	s_or_b32 exec_lo, exec_lo, s0
	v_cmp_eq_u16_sdwa s0, v9, v6 src0_sel:WORD_1 src1_sel:DWORD
	s_waitcnt lgkmcnt(0)
	v_cmp_eq_u16_e32 vcc_lo, v7, v4
	v_cndmask_b32_e64 v12, 0, 1, s0
	v_cmp_eq_u16_sdwa s0, v4, v1 src0_sel:WORD_1 src1_sel:WORD_1
	v_cndmask_b32_e64 v7, 0, 1, vcc_lo
	v_cndmask_b32_e64 v8, 0, 1, s0
	v_cmp_eq_u16_sdwa s0, v4, v4 src0_sel:WORD_1 src1_sel:DWORD
	v_cndmask_b32_e64 v10, 0, 1, s0
	v_cmp_eq_u16_sdwa s0, v2, v2 src0_sel:DWORD src1_sel:WORD_1
	v_perm_b32 v11, v10, v7, 0x5040100
	v_cndmask_b32_e64 v13, 0, 1, s0
	v_cmp_eq_u16_sdwa s0, v2, v1 src0_sel:DWORD src1_sel:WORD_1
	v_cndmask_b32_e64 v14, 0, 1, s0
	v_cmp_eq_u16_sdwa s0, v9, v2 src0_sel:DWORD src1_sel:WORD_1
	v_perm_b32 v10, v14, v8, 0x5040100
	v_cndmask_b32_e64 v15, 0, 1, s0
	v_cmp_eq_u16_sdwa s0, v9, v9 src0_sel:DWORD src1_sel:WORD_1
	v_perm_b32 v8, v15, v13, 0x5040100
	v_cndmask_b32_e64 v16, 0, 1, s0
	v_perm_b32 v7, v12, v16, 0x5040100
	s_branch .LBB6_8
.LBB6_4:
                                        ; implicit-def: $vgpr7
                                        ; implicit-def: $vgpr8
                                        ; implicit-def: $vgpr10
                                        ; implicit-def: $vgpr11
	s_cbranch_execz .LBB6_8
; %bb.5:
	s_waitcnt vmcnt(1)
	v_cmp_eq_u16_sdwa s0, v9, v6 src0_sel:WORD_1 src1_sel:DWORD
	s_waitcnt vmcnt(0)
	v_cmp_eq_u16_e32 vcc_lo, v4, v1
	ds_write_b16 v5, v6
	s_waitcnt lgkmcnt(0)
	s_barrier
	v_cndmask_b32_e64 v7, 0, 1, s0
	v_cmp_eq_u16_sdwa s0, v4, v1 src0_sel:WORD_1 src1_sel:WORD_1
	v_cndmask_b32_e64 v10, 0, 1, vcc_lo
	buffer_gl0_inv
	v_cndmask_b32_e64 v8, 0, 1, s0
	v_cmp_eq_u16_sdwa s0, v2, v2 src0_sel:DWORD src1_sel:WORD_1
	v_perm_b32 v11, v10, 1, 0x5040100
	v_cndmask_b32_e64 v12, 0, 1, s0
	v_cmp_eq_u16_sdwa s0, v1, v2 src0_sel:WORD_1 src1_sel:DWORD
	v_cndmask_b32_e64 v1, 0, 1, s0
	v_cmp_eq_u16_sdwa s0, v2, v9 src0_sel:WORD_1 src1_sel:DWORD
	v_perm_b32 v10, v1, v8, 0x5040100
	v_cndmask_b32_e64 v2, 0, 1, s0
	v_cmp_eq_u16_sdwa s0, v9, v9 src0_sel:DWORD src1_sel:WORD_1
	v_perm_b32 v8, v2, v12, 0x5040100
	v_cndmask_b32_e64 v9, 0, 1, s0
	s_mov_b32 s0, exec_lo
	v_perm_b32 v7, v7, v9, 0x5040100
	v_cmpx_ne_u32_e32 0, v0
	s_cbranch_execz .LBB6_7
; %bb.6:
	v_add_nc_u32_e32 v0, -2, v5
	ds_read_u16 v0, v0
	s_waitcnt lgkmcnt(0)
	v_cmp_eq_u16_e32 vcc_lo, v0, v4
	v_cndmask_b32_e64 v0, 0, 1, vcc_lo
	v_bfi_b32 v11, 0xffff, v0, v11
.LBB6_7:
	s_or_b32 exec_lo, exec_lo, s0
.LBB6_8:
	s_waitcnt vmcnt(0)
	v_lshrrev_b32_e32 v1, 16, v11
	v_lshrrev_b32_e32 v6, 16, v10
	;; [unrolled: 1-line block ×3, first 2 shown]
	v_bfe_i32 v0, v11, 0, 16
	v_lshrrev_b32_e32 v11, 16, v7
	v_bfe_i32 v2, v1, 0, 16
	v_bfe_i32 v4, v10, 0, 16
	;; [unrolled: 1-line block ×7, first 2 shown]
	s_lshl_b64 s[0:1], s[4:5], 3
	v_lshlrev_b32_e32 v16, 3, v3
	v_ashrrev_i32_e32 v1, 31, v0
	v_ashrrev_i32_e32 v3, 31, v2
	;; [unrolled: 1-line block ×4, first 2 shown]
	s_add_u32 s0, s2, s0
	v_ashrrev_i32_e32 v9, 31, v8
	v_ashrrev_i32_e32 v11, 31, v10
	s_addc_u32 s1, s3, s1
	v_ashrrev_i32_e32 v13, 31, v12
	v_ashrrev_i32_e32 v15, 31, v14
	global_store_dwordx4 v16, v[0:3], s[0:1]
	global_store_dwordx4 v16, v[4:7], s[0:1] offset:16
	global_store_dwordx4 v16, v[8:11], s[0:1] offset:32
	;; [unrolled: 1-line block ×3, first 2 shown]
	s_endpgm
	.section	.rodata,"a",@progbits
	.p2align	6, 0x0
	.amdhsa_kernel _Z17flag_heads_kernelIssN6hipcub8EqualityELj512ELj8EEvPT_Px
		.amdhsa_group_segment_fixed_size 2048
		.amdhsa_private_segment_fixed_size 0
		.amdhsa_kernarg_size 16
		.amdhsa_user_sgpr_count 6
		.amdhsa_user_sgpr_private_segment_buffer 1
		.amdhsa_user_sgpr_dispatch_ptr 0
		.amdhsa_user_sgpr_queue_ptr 0
		.amdhsa_user_sgpr_kernarg_segment_ptr 1
		.amdhsa_user_sgpr_dispatch_id 0
		.amdhsa_user_sgpr_flat_scratch_init 0
		.amdhsa_user_sgpr_private_segment_size 0
		.amdhsa_wavefront_size32 1
		.amdhsa_uses_dynamic_stack 0
		.amdhsa_system_sgpr_private_segment_wavefront_offset 0
		.amdhsa_system_sgpr_workgroup_id_x 1
		.amdhsa_system_sgpr_workgroup_id_y 0
		.amdhsa_system_sgpr_workgroup_id_z 0
		.amdhsa_system_sgpr_workgroup_info 0
		.amdhsa_system_vgpr_workitem_id 0
		.amdhsa_next_free_vgpr 17
		.amdhsa_next_free_sgpr 10
		.amdhsa_reserve_vcc 1
		.amdhsa_reserve_flat_scratch 0
		.amdhsa_float_round_mode_32 0
		.amdhsa_float_round_mode_16_64 0
		.amdhsa_float_denorm_mode_32 3
		.amdhsa_float_denorm_mode_16_64 3
		.amdhsa_dx10_clamp 1
		.amdhsa_ieee_mode 1
		.amdhsa_fp16_overflow 0
		.amdhsa_workgroup_processor_mode 1
		.amdhsa_memory_ordered 1
		.amdhsa_forward_progress 1
		.amdhsa_shared_vgpr_count 0
		.amdhsa_exception_fp_ieee_invalid_op 0
		.amdhsa_exception_fp_denorm_src 0
		.amdhsa_exception_fp_ieee_div_zero 0
		.amdhsa_exception_fp_ieee_overflow 0
		.amdhsa_exception_fp_ieee_underflow 0
		.amdhsa_exception_fp_ieee_inexact 0
		.amdhsa_exception_int_div_zero 0
	.end_amdhsa_kernel
	.section	.text._Z17flag_heads_kernelIssN6hipcub8EqualityELj512ELj8EEvPT_Px,"axG",@progbits,_Z17flag_heads_kernelIssN6hipcub8EqualityELj512ELj8EEvPT_Px,comdat
.Lfunc_end6:
	.size	_Z17flag_heads_kernelIssN6hipcub8EqualityELj512ELj8EEvPT_Px, .Lfunc_end6-_Z17flag_heads_kernelIssN6hipcub8EqualityELj512ELj8EEvPT_Px
                                        ; -- End function
	.set _Z17flag_heads_kernelIssN6hipcub8EqualityELj512ELj8EEvPT_Px.num_vgpr, 17
	.set _Z17flag_heads_kernelIssN6hipcub8EqualityELj512ELj8EEvPT_Px.num_agpr, 0
	.set _Z17flag_heads_kernelIssN6hipcub8EqualityELj512ELj8EEvPT_Px.numbered_sgpr, 10
	.set _Z17flag_heads_kernelIssN6hipcub8EqualityELj512ELj8EEvPT_Px.num_named_barrier, 0
	.set _Z17flag_heads_kernelIssN6hipcub8EqualityELj512ELj8EEvPT_Px.private_seg_size, 0
	.set _Z17flag_heads_kernelIssN6hipcub8EqualityELj512ELj8EEvPT_Px.uses_vcc, 1
	.set _Z17flag_heads_kernelIssN6hipcub8EqualityELj512ELj8EEvPT_Px.uses_flat_scratch, 0
	.set _Z17flag_heads_kernelIssN6hipcub8EqualityELj512ELj8EEvPT_Px.has_dyn_sized_stack, 0
	.set _Z17flag_heads_kernelIssN6hipcub8EqualityELj512ELj8EEvPT_Px.has_recursion, 0
	.set _Z17flag_heads_kernelIssN6hipcub8EqualityELj512ELj8EEvPT_Px.has_indirect_call, 0
	.section	.AMDGPU.csdata,"",@progbits
; Kernel info:
; codeLenInByte = 768
; TotalNumSgprs: 12
; NumVgprs: 17
; ScratchSize: 0
; MemoryBound: 0
; FloatMode: 240
; IeeeMode: 1
; LDSByteSize: 2048 bytes/workgroup (compile time only)
; SGPRBlocks: 0
; VGPRBlocks: 2
; NumSGPRsForWavesPerEU: 12
; NumVGPRsForWavesPerEU: 17
; Occupancy: 16
; WaveLimiterHint : 0
; COMPUTE_PGM_RSRC2:SCRATCH_EN: 0
; COMPUTE_PGM_RSRC2:USER_SGPR: 6
; COMPUTE_PGM_RSRC2:TRAP_HANDLER: 0
; COMPUTE_PGM_RSRC2:TGID_X_EN: 1
; COMPUTE_PGM_RSRC2:TGID_Y_EN: 0
; COMPUTE_PGM_RSRC2:TGID_Z_EN: 0
; COMPUTE_PGM_RSRC2:TIDIG_COMP_CNT: 0
	.section	.text._Z17flag_heads_kernelIth15custom_flag_op2ItELj256ELj7EEvPT_Px,"axG",@progbits,_Z17flag_heads_kernelIth15custom_flag_op2ItELj256ELj7EEvPT_Px,comdat
	.protected	_Z17flag_heads_kernelIth15custom_flag_op2ItELj256ELj7EEvPT_Px ; -- Begin function _Z17flag_heads_kernelIth15custom_flag_op2ItELj256ELj7EEvPT_Px
	.globl	_Z17flag_heads_kernelIth15custom_flag_op2ItELj256ELj7EEvPT_Px
	.p2align	8
	.type	_Z17flag_heads_kernelIth15custom_flag_op2ItELj256ELj7EEvPT_Px,@function
_Z17flag_heads_kernelIth15custom_flag_op2ItELj256ELj7EEvPT_Px: ; @_Z17flag_heads_kernelIth15custom_flag_op2ItELj256ELj7EEvPT_Px
; %bb.0:
	s_load_dwordx4 s[0:3], s[4:5], 0x0
	v_mul_u32_u24_e32 v6, 7, v0
	s_mov_b32 s5, 0
	s_mul_i32 s4, s6, 0x700
	v_mov_b32_e32 v8, 0
	s_lshl_b64 s[8:9], s[4:5], 1
	v_lshlrev_b32_e32 v1, 1, v6
	v_lshlrev_b32_e32 v7, 1, v0
	v_cmp_ne_u32_e32 vcc_lo, 0, v0
	s_waitcnt lgkmcnt(0)
	s_add_u32 s8, s0, s8
	s_addc_u32 s9, s1, s9
	s_bitcmp0_b32 s6, 0
	s_clause 0x1
	global_load_dwordx2 v[4:5], v1, s[8:9]
	global_load_dwordx3 v[1:3], v1, s[8:9] offset:2
	s_cbranch_scc1 .LBB7_4
; %bb.1:
	s_add_i32 s6, s4, -1
	s_mov_b32 s7, s5
	s_waitcnt vmcnt(0)
	ds_write_b16_d16_hi v7, v3
	s_lshl_b64 s[6:7], s[6:7], 1
	s_add_u32 s0, s0, s6
	s_addc_u32 s1, s1, s7
	global_load_ushort v8, v8, s[0:1]
	s_waitcnt vmcnt(0) lgkmcnt(0)
	s_barrier
	buffer_gl0_inv
	s_and_saveexec_b32 s0, vcc_lo
; %bb.2:
	v_add_nc_u32_e32 v8, -2, v7
	ds_read_u16 v8, v8
; %bb.3:
	s_or_b32 exec_lo, exec_lo, s0
	v_sub_nc_u32_sdwa v9, v4, v4 dst_sel:DWORD dst_unused:UNUSED_PAD src0_sel:WORD_0 src1_sel:WORD_1
	v_sub_nc_u32_sdwa v11, v5, v5 dst_sel:DWORD dst_unused:UNUSED_PAD src0_sel:WORD_0 src1_sel:WORD_1
	;; [unrolled: 1-line block ×3, first 2 shown]
	s_waitcnt lgkmcnt(0)
	v_sub_nc_u32_sdwa v16, v8, v4 dst_sel:DWORD dst_unused:UNUSED_PAD src0_sel:WORD_0 src1_sel:WORD_0
	v_sub_nc_u32_sdwa v14, v4, v5 dst_sel:DWORD dst_unused:UNUSED_PAD src0_sel:WORD_1 src1_sel:WORD_0
	v_cmp_lt_i32_e32 vcc_lo, 5, v9
	v_sub_nc_u32_sdwa v12, v2, v3 dst_sel:DWORD dst_unused:UNUSED_PAD src0_sel:WORD_1 src1_sel:WORD_0
	v_mov_b32_e32 v15, 8
	v_sub_nc_u32_sdwa v13, v5, v2 dst_sel:DWORD dst_unused:UNUSED_PAD src0_sel:WORD_1 src1_sel:WORD_1
	v_cndmask_b32_e64 v9, 0, 1, vcc_lo
	v_cmp_lt_i32_e32 vcc_lo, 5, v11
	v_lshlrev_b16 v9, 8, v9
	v_cndmask_b32_e64 v11, 0, 1, vcc_lo
	v_cmp_lt_i32_e32 vcc_lo, 5, v10
	v_lshrrev_b32_sdwa v9, v15, v9 dst_sel:BYTE_1 dst_unused:UNUSED_PAD src0_sel:DWORD src1_sel:DWORD
	v_lshlrev_b16 v11, 8, v11
	v_cndmask_b32_e64 v8, 0, 1, vcc_lo
	v_cmp_lt_i32_e32 vcc_lo, 5, v16
	v_lshrrev_b32_sdwa v11, v15, v11 dst_sel:BYTE_1 dst_unused:UNUSED_PAD src0_sel:DWORD src1_sel:DWORD
	v_lshlrev_b16 v15, 8, v8
	v_cndmask_b32_e64 v10, 0, 1, vcc_lo
	v_cmp_lt_i32_e32 vcc_lo, 5, v14
	v_or_b32_e32 v9, v10, v9
	v_cndmask_b32_e64 v14, 0, 1, vcc_lo
	v_cmp_lt_i32_e32 vcc_lo, 5, v12
	v_or_b32_sdwa v14, v14, v11 dst_sel:WORD_1 dst_unused:UNUSED_PAD src0_sel:DWORD src1_sel:DWORD
	v_cndmask_b32_e64 v12, 0, 1, vcc_lo
	v_cmp_lt_i32_e32 vcc_lo, 5, v13
	v_or_b32_sdwa v9, v9, v14 dst_sel:DWORD dst_unused:UNUSED_PAD src0_sel:WORD_0 src1_sel:DWORD
	v_or_b32_e32 v11, v12, v15
	v_cndmask_b32_e64 v10, 0, 1, vcc_lo
	s_branch .LBB7_8
.LBB7_4:
                                        ; implicit-def: $vgpr8
                                        ; implicit-def: $vgpr11
                                        ; implicit-def: $vgpr10
                                        ; implicit-def: $vgpr9
	s_cbranch_execz .LBB7_8
; %bb.5:
	s_waitcnt vmcnt(0)
	v_sub_nc_u32_sdwa v8, v5, v2 dst_sel:DWORD dst_unused:UNUSED_PAD src0_sel:WORD_0 src1_sel:WORD_0
	v_sub_nc_u32_sdwa v9, v2, v3 dst_sel:DWORD dst_unused:UNUSED_PAD src0_sel:WORD_1 src1_sel:WORD_0
	v_sub_nc_u32_sdwa v2, v5, v2 dst_sel:DWORD dst_unused:UNUSED_PAD src0_sel:WORD_1 src1_sel:WORD_1
	v_lshrrev_b32_e32 v12, 16, v3
	v_sub_nc_u32_sdwa v5, v4, v1 dst_sel:DWORD dst_unused:UNUSED_PAD src0_sel:WORD_0 src1_sel:WORD_0
	v_cmp_lt_i32_e32 vcc_lo, 5, v8
	v_sub_nc_u32_sdwa v10, v4, v1 dst_sel:DWORD dst_unused:UNUSED_PAD src0_sel:WORD_1 src1_sel:WORD_1
	v_mov_b32_e32 v1, 8
	v_sub_nc_u32_sdwa v3, v3, v12 dst_sel:DWORD dst_unused:UNUSED_PAD src0_sel:WORD_0 src1_sel:DWORD
	s_mov_b32 s0, exec_lo
	v_cndmask_b32_e64 v8, 0, 1, vcc_lo
	v_cmp_lt_i32_e32 vcc_lo, 5, v2
	ds_write_b16 v7, v12
	s_waitcnt lgkmcnt(0)
	s_barrier
	v_lshlrev_b16 v11, 8, v8
	v_cndmask_b32_e64 v2, 0, 1, vcc_lo
	v_cmp_lt_i32_e32 vcc_lo, 5, v5
	buffer_gl0_inv
	v_lshrrev_b32_sdwa v11, v1, v11 dst_sel:BYTE_1 dst_unused:UNUSED_PAD src0_sel:DWORD src1_sel:DWORD
	v_lshlrev_b16 v13, 8, v2
	v_cndmask_b32_e64 v5, 0, 1, vcc_lo
	v_cmp_lt_i32_e32 vcc_lo, 5, v3
	v_lshlrev_b16 v5, 8, v5
	v_cndmask_b32_e64 v8, 0, 1, vcc_lo
	v_cmp_lt_i32_e32 vcc_lo, 5, v10
	v_lshrrev_b32_sdwa v5, v1, v5 dst_sel:BYTE_1 dst_unused:UNUSED_PAD src0_sel:DWORD src1_sel:DWORD
	v_lshlrev_b16 v14, 8, v8
	v_cndmask_b32_e64 v10, 0, 1, vcc_lo
	v_cmp_lt_i32_e32 vcc_lo, 5, v9
	v_or_b32_e32 v5, 1, v5
	v_or_b32_sdwa v9, v10, v11 dst_sel:WORD_1 dst_unused:UNUSED_PAD src0_sel:DWORD src1_sel:DWORD
	v_cndmask_b32_e64 v3, 0, 1, vcc_lo
	v_lshrrev_b32_e32 v10, 8, v13
	v_or_b32_sdwa v9, v5, v9 dst_sel:DWORD dst_unused:UNUSED_PAD src0_sel:WORD_0 src1_sel:DWORD
	v_or_b32_e32 v11, v3, v14
	v_and_b32_e32 v10, 1, v10
	v_cmpx_ne_u32_e32 0, v0
	s_cbranch_execz .LBB7_7
; %bb.6:
	v_add_nc_u32_e32 v0, -2, v7
	v_lshlrev_b16 v3, 8, v3
	v_mov_b32_e32 v5, 24
	v_mov_b32_e32 v7, 0xff
	ds_read_u16 v0, v0
	v_lshrrev_b32_sdwa v3, v1, v3 dst_sel:BYTE_1 dst_unused:UNUSED_PAD src0_sel:DWORD src1_sel:DWORD
	v_lshrrev_b32_sdwa v1, v1, v9 dst_sel:BYTE_1 dst_unused:UNUSED_PAD src0_sel:DWORD src1_sel:DWORD
	v_or_b32_e32 v2, v2, v3
	v_lshrrev_b32_sdwa v3, v5, v9 dst_sel:BYTE_1 dst_unused:UNUSED_PAD src0_sel:DWORD src1_sel:DWORD
	v_and_b32_e32 v2, 0xffff, v2
	v_lshl_or_b32 v10, v8, 16, v2
	s_waitcnt lgkmcnt(0)
	v_sub_nc_u32_sdwa v0, v0, v4 dst_sel:DWORD dst_unused:UNUSED_PAD src0_sel:DWORD src1_sel:WORD_0
	v_and_b32_sdwa v4, v9, v7 dst_sel:DWORD dst_unused:UNUSED_PAD src0_sel:WORD_1 src1_sel:DWORD
	v_lshrrev_b32_e32 v11, 8, v10
	v_lshrrev_b32_e32 v8, 16, v10
	v_cmp_lt_i32_e32 vcc_lo, 5, v0
	v_or_b32_sdwa v3, v4, v3 dst_sel:WORD_1 dst_unused:UNUSED_PAD src0_sel:DWORD src1_sel:DWORD
	v_cndmask_b32_e64 v0, 0, 1, vcc_lo
	v_or_b32_e32 v0, v0, v1
	v_or_b32_sdwa v9, v0, v3 dst_sel:DWORD dst_unused:UNUSED_PAD src0_sel:WORD_0 src1_sel:DWORD
.LBB7_7:
	s_or_b32 exec_lo, exec_lo, s0
.LBB7_8:
	s_waitcnt vmcnt(0)
	v_mov_b32_e32 v1, 0
	s_lshl_b64 s[0:1], s[4:5], 3
	v_lshlrev_b32_e32 v4, 3, v6
	v_and_b32_e32 v0, 0xff, v9
	v_bfe_u32 v2, v9, 8, 8
	v_mov_b32_e32 v3, v1
	s_add_u32 s0, s2, s0
	s_addc_u32 s1, s3, s1
	global_store_dwordx4 v4, v[0:3], s[0:1]
	v_lshrrev_b32_e32 v2, 24, v9
	v_bfe_u32 v0, v9, 16, 8
	global_store_dwordx4 v4, v[0:3], s[0:1] offset:16
	v_and_b32_e32 v0, 0xff, v10
	v_and_b32_e32 v2, 0xff, v11
	global_store_dwordx4 v4, v[0:3], s[0:1] offset:32
	v_and_b32_e32 v0, 0xff, v8
	global_store_dwordx2 v4, v[0:1], s[0:1] offset:48
	s_endpgm
	.section	.rodata,"a",@progbits
	.p2align	6, 0x0
	.amdhsa_kernel _Z17flag_heads_kernelIth15custom_flag_op2ItELj256ELj7EEvPT_Px
		.amdhsa_group_segment_fixed_size 1024
		.amdhsa_private_segment_fixed_size 0
		.amdhsa_kernarg_size 16
		.amdhsa_user_sgpr_count 6
		.amdhsa_user_sgpr_private_segment_buffer 1
		.amdhsa_user_sgpr_dispatch_ptr 0
		.amdhsa_user_sgpr_queue_ptr 0
		.amdhsa_user_sgpr_kernarg_segment_ptr 1
		.amdhsa_user_sgpr_dispatch_id 0
		.amdhsa_user_sgpr_flat_scratch_init 0
		.amdhsa_user_sgpr_private_segment_size 0
		.amdhsa_wavefront_size32 1
		.amdhsa_uses_dynamic_stack 0
		.amdhsa_system_sgpr_private_segment_wavefront_offset 0
		.amdhsa_system_sgpr_workgroup_id_x 1
		.amdhsa_system_sgpr_workgroup_id_y 0
		.amdhsa_system_sgpr_workgroup_id_z 0
		.amdhsa_system_sgpr_workgroup_info 0
		.amdhsa_system_vgpr_workitem_id 0
		.amdhsa_next_free_vgpr 17
		.amdhsa_next_free_sgpr 10
		.amdhsa_reserve_vcc 1
		.amdhsa_reserve_flat_scratch 0
		.amdhsa_float_round_mode_32 0
		.amdhsa_float_round_mode_16_64 0
		.amdhsa_float_denorm_mode_32 3
		.amdhsa_float_denorm_mode_16_64 3
		.amdhsa_dx10_clamp 1
		.amdhsa_ieee_mode 1
		.amdhsa_fp16_overflow 0
		.amdhsa_workgroup_processor_mode 1
		.amdhsa_memory_ordered 1
		.amdhsa_forward_progress 1
		.amdhsa_shared_vgpr_count 0
		.amdhsa_exception_fp_ieee_invalid_op 0
		.amdhsa_exception_fp_denorm_src 0
		.amdhsa_exception_fp_ieee_div_zero 0
		.amdhsa_exception_fp_ieee_overflow 0
		.amdhsa_exception_fp_ieee_underflow 0
		.amdhsa_exception_fp_ieee_inexact 0
		.amdhsa_exception_int_div_zero 0
	.end_amdhsa_kernel
	.section	.text._Z17flag_heads_kernelIth15custom_flag_op2ItELj256ELj7EEvPT_Px,"axG",@progbits,_Z17flag_heads_kernelIth15custom_flag_op2ItELj256ELj7EEvPT_Px,comdat
.Lfunc_end7:
	.size	_Z17flag_heads_kernelIth15custom_flag_op2ItELj256ELj7EEvPT_Px, .Lfunc_end7-_Z17flag_heads_kernelIth15custom_flag_op2ItELj256ELj7EEvPT_Px
                                        ; -- End function
	.set _Z17flag_heads_kernelIth15custom_flag_op2ItELj256ELj7EEvPT_Px.num_vgpr, 17
	.set _Z17flag_heads_kernelIth15custom_flag_op2ItELj256ELj7EEvPT_Px.num_agpr, 0
	.set _Z17flag_heads_kernelIth15custom_flag_op2ItELj256ELj7EEvPT_Px.numbered_sgpr, 10
	.set _Z17flag_heads_kernelIth15custom_flag_op2ItELj256ELj7EEvPT_Px.num_named_barrier, 0
	.set _Z17flag_heads_kernelIth15custom_flag_op2ItELj256ELj7EEvPT_Px.private_seg_size, 0
	.set _Z17flag_heads_kernelIth15custom_flag_op2ItELj256ELj7EEvPT_Px.uses_vcc, 1
	.set _Z17flag_heads_kernelIth15custom_flag_op2ItELj256ELj7EEvPT_Px.uses_flat_scratch, 0
	.set _Z17flag_heads_kernelIth15custom_flag_op2ItELj256ELj7EEvPT_Px.has_dyn_sized_stack, 0
	.set _Z17flag_heads_kernelIth15custom_flag_op2ItELj256ELj7EEvPT_Px.has_recursion, 0
	.set _Z17flag_heads_kernelIth15custom_flag_op2ItELj256ELj7EEvPT_Px.has_indirect_call, 0
	.section	.AMDGPU.csdata,"",@progbits
; Kernel info:
; codeLenInByte = 884
; TotalNumSgprs: 12
; NumVgprs: 17
; ScratchSize: 0
; MemoryBound: 0
; FloatMode: 240
; IeeeMode: 1
; LDSByteSize: 1024 bytes/workgroup (compile time only)
; SGPRBlocks: 0
; VGPRBlocks: 2
; NumSGPRsForWavesPerEU: 12
; NumVGPRsForWavesPerEU: 17
; Occupancy: 16
; WaveLimiterHint : 0
; COMPUTE_PGM_RSRC2:SCRATCH_EN: 0
; COMPUTE_PGM_RSRC2:USER_SGPR: 6
; COMPUTE_PGM_RSRC2:TRAP_HANDLER: 0
; COMPUTE_PGM_RSRC2:TGID_X_EN: 1
; COMPUTE_PGM_RSRC2:TGID_Y_EN: 0
; COMPUTE_PGM_RSRC2:TGID_Z_EN: 0
; COMPUTE_PGM_RSRC2:TIDIG_COMP_CNT: 0
	.section	.text._Z17flag_heads_kernelIisN10test_utils4lessELj128ELj4EEvPT_Px,"axG",@progbits,_Z17flag_heads_kernelIisN10test_utils4lessELj128ELj4EEvPT_Px,comdat
	.protected	_Z17flag_heads_kernelIisN10test_utils4lessELj128ELj4EEvPT_Px ; -- Begin function _Z17flag_heads_kernelIisN10test_utils4lessELj128ELj4EEvPT_Px
	.globl	_Z17flag_heads_kernelIisN10test_utils4lessELj128ELj4EEvPT_Px
	.p2align	8
	.type	_Z17flag_heads_kernelIisN10test_utils4lessELj128ELj4EEvPT_Px,@function
_Z17flag_heads_kernelIisN10test_utils4lessELj128ELj4EEvPT_Px: ; @_Z17flag_heads_kernelIisN10test_utils4lessELj128ELj4EEvPT_Px
; %bb.0:
	s_load_dwordx4 s[0:3], s[4:5], 0x0
	s_mov_b32 s5, 0
	s_lshl_b32 s4, s6, 9
	v_lshlrev_b32_e32 v1, 4, v0
	s_lshl_b64 s[8:9], s[4:5], 2
	v_lshlrev_b32_e32 v6, 2, v0
	v_cmp_ne_u32_e32 vcc_lo, 0, v0
	s_waitcnt lgkmcnt(0)
	s_add_u32 s8, s0, s8
	s_addc_u32 s9, s1, s9
	s_bitcmp0_b32 s6, 0
	s_clause 0x1
	global_load_dwordx2 v[4:5], v1, s[8:9]
	global_load_dwordx3 v[1:3], v1, s[8:9] offset:4
	s_cbranch_scc1 .LBB8_4
; %bb.1:
	s_add_i32 s6, s4, -1
	s_mov_b32 s7, s5
	s_waitcnt vmcnt(0)
	ds_write_b32 v6, v3
	s_lshl_b64 s[6:7], s[6:7], 2
	s_add_u32 s0, s0, s6
	s_addc_u32 s1, s1, s7
	s_load_dword s0, s[0:1], 0x0
	s_waitcnt lgkmcnt(0)
	s_barrier
	buffer_gl0_inv
	v_mov_b32_e32 v7, s0
	s_and_saveexec_b32 s0, vcc_lo
; %bb.2:
	v_add_nc_u32_e32 v7, -4, v6
	ds_read_b32 v7, v7
; %bb.3:
	s_or_b32 exec_lo, exec_lo, s0
	v_cmp_lt_i32_e32 vcc_lo, v2, v3
	v_cndmask_b32_e64 v8, 0, 1, vcc_lo
	v_cmp_lt_i32_e32 vcc_lo, v4, v5
	v_cndmask_b32_e64 v9, 0, 1, vcc_lo
	s_waitcnt lgkmcnt(0)
	v_cmp_lt_i32_e32 vcc_lo, v7, v4
	v_cndmask_b32_e64 v7, 0, 1, vcc_lo
	v_cmp_lt_i32_e32 vcc_lo, v5, v2
	v_perm_b32 v7, v9, v7, 0x5040100
	v_cndmask_b32_e64 v10, 0, 1, vcc_lo
	v_perm_b32 v8, v8, v10, 0x5040100
	s_branch .LBB8_8
.LBB8_4:
                                        ; implicit-def: $vgpr8
                                        ; implicit-def: $vgpr7
	s_cbranch_execz .LBB8_8
; %bb.5:
	s_waitcnt vmcnt(0)
	v_cmp_lt_i32_e32 vcc_lo, v2, v3
	s_mov_b32 s0, exec_lo
	ds_write_b32 v6, v3
	s_waitcnt lgkmcnt(0)
	s_barrier
	v_cndmask_b32_e64 v8, 0, 1, vcc_lo
	v_cmp_lt_i32_e32 vcc_lo, v4, v1
	buffer_gl0_inv
	v_cndmask_b32_e64 v1, 0, 1, vcc_lo
	v_cmp_lt_i32_e32 vcc_lo, v5, v2
	v_perm_b32 v7, v1, 1, 0x5040100
	v_cndmask_b32_e64 v2, 0, 1, vcc_lo
	v_perm_b32 v8, v8, v2, 0x5040100
	v_cmpx_ne_u32_e32 0, v0
	s_cbranch_execz .LBB8_7
; %bb.6:
	v_add_nc_u32_e32 v0, -4, v6
	ds_read_b32 v0, v0
	s_waitcnt lgkmcnt(0)
	v_cmp_lt_i32_e32 vcc_lo, v0, v4
	v_cndmask_b32_e64 v0, 0, 1, vcc_lo
	v_bfi_b32 v7, 0xffff, v0, v7
.LBB8_7:
	s_or_b32 exec_lo, exec_lo, s0
.LBB8_8:
	s_waitcnt vmcnt(0)
	v_lshrrev_b32_e32 v1, 16, v7
	v_lshrrev_b32_e32 v3, 16, v8
	v_bfe_i32 v0, v7, 0, 16
	v_bfe_i32 v5, v8, 0, 16
	s_lshl_b64 s[0:1], s[4:5], 3
	v_bfe_i32 v2, v1, 0, 16
	v_bfe_i32 v7, v3, 0, 16
	v_lshlrev_b32_e32 v4, 3, v6
	v_ashrrev_i32_e32 v1, 31, v0
	v_ashrrev_i32_e32 v6, 31, v5
	;; [unrolled: 1-line block ×4, first 2 shown]
	s_add_u32 s0, s2, s0
	s_addc_u32 s1, s3, s1
	global_store_dwordx4 v4, v[0:3], s[0:1]
	global_store_dwordx4 v4, v[5:8], s[0:1] offset:16
	s_endpgm
	.section	.rodata,"a",@progbits
	.p2align	6, 0x0
	.amdhsa_kernel _Z17flag_heads_kernelIisN10test_utils4lessELj128ELj4EEvPT_Px
		.amdhsa_group_segment_fixed_size 1024
		.amdhsa_private_segment_fixed_size 0
		.amdhsa_kernarg_size 16
		.amdhsa_user_sgpr_count 6
		.amdhsa_user_sgpr_private_segment_buffer 1
		.amdhsa_user_sgpr_dispatch_ptr 0
		.amdhsa_user_sgpr_queue_ptr 0
		.amdhsa_user_sgpr_kernarg_segment_ptr 1
		.amdhsa_user_sgpr_dispatch_id 0
		.amdhsa_user_sgpr_flat_scratch_init 0
		.amdhsa_user_sgpr_private_segment_size 0
		.amdhsa_wavefront_size32 1
		.amdhsa_uses_dynamic_stack 0
		.amdhsa_system_sgpr_private_segment_wavefront_offset 0
		.amdhsa_system_sgpr_workgroup_id_x 1
		.amdhsa_system_sgpr_workgroup_id_y 0
		.amdhsa_system_sgpr_workgroup_id_z 0
		.amdhsa_system_sgpr_workgroup_info 0
		.amdhsa_system_vgpr_workitem_id 0
		.amdhsa_next_free_vgpr 11
		.amdhsa_next_free_sgpr 10
		.amdhsa_reserve_vcc 1
		.amdhsa_reserve_flat_scratch 0
		.amdhsa_float_round_mode_32 0
		.amdhsa_float_round_mode_16_64 0
		.amdhsa_float_denorm_mode_32 3
		.amdhsa_float_denorm_mode_16_64 3
		.amdhsa_dx10_clamp 1
		.amdhsa_ieee_mode 1
		.amdhsa_fp16_overflow 0
		.amdhsa_workgroup_processor_mode 1
		.amdhsa_memory_ordered 1
		.amdhsa_forward_progress 1
		.amdhsa_shared_vgpr_count 0
		.amdhsa_exception_fp_ieee_invalid_op 0
		.amdhsa_exception_fp_denorm_src 0
		.amdhsa_exception_fp_ieee_div_zero 0
		.amdhsa_exception_fp_ieee_overflow 0
		.amdhsa_exception_fp_ieee_underflow 0
		.amdhsa_exception_fp_ieee_inexact 0
		.amdhsa_exception_int_div_zero 0
	.end_amdhsa_kernel
	.section	.text._Z17flag_heads_kernelIisN10test_utils4lessELj128ELj4EEvPT_Px,"axG",@progbits,_Z17flag_heads_kernelIisN10test_utils4lessELj128ELj4EEvPT_Px,comdat
.Lfunc_end8:
	.size	_Z17flag_heads_kernelIisN10test_utils4lessELj128ELj4EEvPT_Px, .Lfunc_end8-_Z17flag_heads_kernelIisN10test_utils4lessELj128ELj4EEvPT_Px
                                        ; -- End function
	.set _Z17flag_heads_kernelIisN10test_utils4lessELj128ELj4EEvPT_Px.num_vgpr, 11
	.set _Z17flag_heads_kernelIisN10test_utils4lessELj128ELj4EEvPT_Px.num_agpr, 0
	.set _Z17flag_heads_kernelIisN10test_utils4lessELj128ELj4EEvPT_Px.numbered_sgpr, 10
	.set _Z17flag_heads_kernelIisN10test_utils4lessELj128ELj4EEvPT_Px.num_named_barrier, 0
	.set _Z17flag_heads_kernelIisN10test_utils4lessELj128ELj4EEvPT_Px.private_seg_size, 0
	.set _Z17flag_heads_kernelIisN10test_utils4lessELj128ELj4EEvPT_Px.uses_vcc, 1
	.set _Z17flag_heads_kernelIisN10test_utils4lessELj128ELj4EEvPT_Px.uses_flat_scratch, 0
	.set _Z17flag_heads_kernelIisN10test_utils4lessELj128ELj4EEvPT_Px.has_dyn_sized_stack, 0
	.set _Z17flag_heads_kernelIisN10test_utils4lessELj128ELj4EEvPT_Px.has_recursion, 0
	.set _Z17flag_heads_kernelIisN10test_utils4lessELj128ELj4EEvPT_Px.has_indirect_call, 0
	.section	.AMDGPU.csdata,"",@progbits
; Kernel info:
; codeLenInByte = 476
; TotalNumSgprs: 12
; NumVgprs: 11
; ScratchSize: 0
; MemoryBound: 0
; FloatMode: 240
; IeeeMode: 1
; LDSByteSize: 1024 bytes/workgroup (compile time only)
; SGPRBlocks: 0
; VGPRBlocks: 1
; NumSGPRsForWavesPerEU: 12
; NumVGPRsForWavesPerEU: 11
; Occupancy: 16
; WaveLimiterHint : 0
; COMPUTE_PGM_RSRC2:SCRATCH_EN: 0
; COMPUTE_PGM_RSRC2:USER_SGPR: 6
; COMPUTE_PGM_RSRC2:TRAP_HANDLER: 0
; COMPUTE_PGM_RSRC2:TGID_X_EN: 1
; COMPUTE_PGM_RSRC2:TGID_Y_EN: 0
; COMPUTE_PGM_RSRC2:TGID_Z_EN: 0
; COMPUTE_PGM_RSRC2:TIDIG_COMP_CNT: 0
	.section	.text._Z17flag_heads_kernelIic15custom_flag_op2IiELj64ELj2EEvPT_Px,"axG",@progbits,_Z17flag_heads_kernelIic15custom_flag_op2IiELj64ELj2EEvPT_Px,comdat
	.protected	_Z17flag_heads_kernelIic15custom_flag_op2IiELj64ELj2EEvPT_Px ; -- Begin function _Z17flag_heads_kernelIic15custom_flag_op2IiELj64ELj2EEvPT_Px
	.globl	_Z17flag_heads_kernelIic15custom_flag_op2IiELj64ELj2EEvPT_Px
	.p2align	8
	.type	_Z17flag_heads_kernelIic15custom_flag_op2IiELj64ELj2EEvPT_Px,@function
_Z17flag_heads_kernelIic15custom_flag_op2IiELj64ELj2EEvPT_Px: ; @_Z17flag_heads_kernelIic15custom_flag_op2IiELj64ELj2EEvPT_Px
; %bb.0:
	s_load_dwordx4 s[0:3], s[4:5], 0x0
	s_lshl_b32 s4, s6, 7
	s_mov_b32 s5, 0
	v_lshlrev_b32_e32 v1, 3, v0
	s_lshl_b64 s[8:9], s[4:5], 2
	v_lshlrev_b32_e32 v3, 1, v0
	v_lshlrev_b32_e32 v4, 2, v0
	v_cmp_ne_u32_e32 vcc_lo, 0, v0
	s_waitcnt lgkmcnt(0)
	s_add_u32 s8, s0, s8
	s_addc_u32 s9, s1, s9
	s_bitcmp0_b32 s6, 0
	global_load_dwordx2 v[1:2], v1, s[8:9]
	s_cbranch_scc1 .LBB9_4
; %bb.1:
	s_add_i32 s6, s4, -1
	s_mov_b32 s7, s5
	s_waitcnt vmcnt(0)
	ds_write_b32 v4, v2
	s_lshl_b64 s[6:7], s[6:7], 2
	s_add_u32 s0, s0, s6
	s_addc_u32 s1, s1, s7
	s_load_dword s0, s[0:1], 0x0
	s_waitcnt lgkmcnt(0)
	s_barrier
	buffer_gl0_inv
	v_mov_b32_e32 v5, s0
	s_and_saveexec_b32 s0, vcc_lo
; %bb.2:
	v_add_nc_u32_e32 v5, -4, v4
	ds_read_b32 v5, v5
; %bb.3:
	s_or_b32 exec_lo, exec_lo, s0
	v_sub_nc_u32_e32 v6, v1, v2
	s_waitcnt lgkmcnt(0)
	v_sub_nc_u32_e32 v5, v5, v1
	v_cmp_lt_i32_e32 vcc_lo, 5, v6
	v_cndmask_b32_e64 v6, 0, 1, vcc_lo
	v_cmp_lt_i32_e32 vcc_lo, 5, v5
	v_lshlrev_b16 v6, 8, v6
	v_cndmask_b32_e64 v5, 0, 1, vcc_lo
	v_or_b32_e32 v5, v5, v6
	v_and_b32_e32 v5, 0xffff, v5
	s_branch .LBB9_8
.LBB9_4:
                                        ; implicit-def: $vgpr5
	s_cbranch_execz .LBB9_8
; %bb.5:
	s_waitcnt vmcnt(0)
	v_sub_nc_u32_e32 v5, v1, v2
	s_mov_b32 s0, exec_lo
	ds_write_b32 v4, v2
	s_waitcnt lgkmcnt(0)
	s_barrier
	v_cmp_lt_i32_e32 vcc_lo, 5, v5
	buffer_gl0_inv
	v_cndmask_b32_e64 v5, 0, 1, vcc_lo
	v_lshlrev_b16 v5, 8, v5
	v_or_b32_e32 v5, 1, v5
	v_and_b32_e32 v5, 0xffff, v5
	v_cmpx_ne_u32_e32 0, v0
	s_cbranch_execz .LBB9_7
; %bb.6:
	v_add_nc_u32_e32 v0, -4, v4
	ds_read_b32 v0, v0
	s_waitcnt lgkmcnt(0)
	v_sub_nc_u32_e32 v0, v0, v1
	v_and_b32_e32 v1, 0x100, v5
	v_cmp_lt_i32_e32 vcc_lo, 5, v0
	v_cndmask_b32_e64 v0, 0, 1, vcc_lo
	v_or_b32_e32 v0, v0, v1
	v_and_b32_e32 v5, 0xffff, v0
.LBB9_7:
	s_or_b32 exec_lo, exec_lo, s0
.LBB9_8:
	s_waitcnt vmcnt(0)
	v_lshrrev_b16 v1, 8, v5
	v_bfe_i32 v0, v5, 0, 8
	s_lshl_b64 s[0:1], s[4:5], 3
	v_lshlrev_b32_e32 v4, 3, v3
	s_add_u32 s0, s2, s0
	v_bfe_i32 v2, v1, 0, 8
	v_ashrrev_i32_e32 v1, 31, v0
	s_addc_u32 s1, s3, s1
	v_ashrrev_i32_e32 v3, 31, v2
	global_store_dwordx4 v4, v[0:3], s[0:1]
	s_endpgm
	.section	.rodata,"a",@progbits
	.p2align	6, 0x0
	.amdhsa_kernel _Z17flag_heads_kernelIic15custom_flag_op2IiELj64ELj2EEvPT_Px
		.amdhsa_group_segment_fixed_size 512
		.amdhsa_private_segment_fixed_size 0
		.amdhsa_kernarg_size 16
		.amdhsa_user_sgpr_count 6
		.amdhsa_user_sgpr_private_segment_buffer 1
		.amdhsa_user_sgpr_dispatch_ptr 0
		.amdhsa_user_sgpr_queue_ptr 0
		.amdhsa_user_sgpr_kernarg_segment_ptr 1
		.amdhsa_user_sgpr_dispatch_id 0
		.amdhsa_user_sgpr_flat_scratch_init 0
		.amdhsa_user_sgpr_private_segment_size 0
		.amdhsa_wavefront_size32 1
		.amdhsa_uses_dynamic_stack 0
		.amdhsa_system_sgpr_private_segment_wavefront_offset 0
		.amdhsa_system_sgpr_workgroup_id_x 1
		.amdhsa_system_sgpr_workgroup_id_y 0
		.amdhsa_system_sgpr_workgroup_id_z 0
		.amdhsa_system_sgpr_workgroup_info 0
		.amdhsa_system_vgpr_workitem_id 0
		.amdhsa_next_free_vgpr 7
		.amdhsa_next_free_sgpr 10
		.amdhsa_reserve_vcc 1
		.amdhsa_reserve_flat_scratch 0
		.amdhsa_float_round_mode_32 0
		.amdhsa_float_round_mode_16_64 0
		.amdhsa_float_denorm_mode_32 3
		.amdhsa_float_denorm_mode_16_64 3
		.amdhsa_dx10_clamp 1
		.amdhsa_ieee_mode 1
		.amdhsa_fp16_overflow 0
		.amdhsa_workgroup_processor_mode 1
		.amdhsa_memory_ordered 1
		.amdhsa_forward_progress 1
		.amdhsa_shared_vgpr_count 0
		.amdhsa_exception_fp_ieee_invalid_op 0
		.amdhsa_exception_fp_denorm_src 0
		.amdhsa_exception_fp_ieee_div_zero 0
		.amdhsa_exception_fp_ieee_overflow 0
		.amdhsa_exception_fp_ieee_underflow 0
		.amdhsa_exception_fp_ieee_inexact 0
		.amdhsa_exception_int_div_zero 0
	.end_amdhsa_kernel
	.section	.text._Z17flag_heads_kernelIic15custom_flag_op2IiELj64ELj2EEvPT_Px,"axG",@progbits,_Z17flag_heads_kernelIic15custom_flag_op2IiELj64ELj2EEvPT_Px,comdat
.Lfunc_end9:
	.size	_Z17flag_heads_kernelIic15custom_flag_op2IiELj64ELj2EEvPT_Px, .Lfunc_end9-_Z17flag_heads_kernelIic15custom_flag_op2IiELj64ELj2EEvPT_Px
                                        ; -- End function
	.set _Z17flag_heads_kernelIic15custom_flag_op2IiELj64ELj2EEvPT_Px.num_vgpr, 7
	.set _Z17flag_heads_kernelIic15custom_flag_op2IiELj64ELj2EEvPT_Px.num_agpr, 0
	.set _Z17flag_heads_kernelIic15custom_flag_op2IiELj64ELj2EEvPT_Px.numbered_sgpr, 10
	.set _Z17flag_heads_kernelIic15custom_flag_op2IiELj64ELj2EEvPT_Px.num_named_barrier, 0
	.set _Z17flag_heads_kernelIic15custom_flag_op2IiELj64ELj2EEvPT_Px.private_seg_size, 0
	.set _Z17flag_heads_kernelIic15custom_flag_op2IiELj64ELj2EEvPT_Px.uses_vcc, 1
	.set _Z17flag_heads_kernelIic15custom_flag_op2IiELj64ELj2EEvPT_Px.uses_flat_scratch, 0
	.set _Z17flag_heads_kernelIic15custom_flag_op2IiELj64ELj2EEvPT_Px.has_dyn_sized_stack, 0
	.set _Z17flag_heads_kernelIic15custom_flag_op2IiELj64ELj2EEvPT_Px.has_recursion, 0
	.set _Z17flag_heads_kernelIic15custom_flag_op2IiELj64ELj2EEvPT_Px.has_indirect_call, 0
	.section	.AMDGPU.csdata,"",@progbits
; Kernel info:
; codeLenInByte = 404
; TotalNumSgprs: 12
; NumVgprs: 7
; ScratchSize: 0
; MemoryBound: 0
; FloatMode: 240
; IeeeMode: 1
; LDSByteSize: 512 bytes/workgroup (compile time only)
; SGPRBlocks: 0
; VGPRBlocks: 0
; NumSGPRsForWavesPerEU: 12
; NumVGPRsForWavesPerEU: 7
; Occupancy: 16
; WaveLimiterHint : 0
; COMPUTE_PGM_RSRC2:SCRATCH_EN: 0
; COMPUTE_PGM_RSRC2:USER_SGPR: 6
; COMPUTE_PGM_RSRC2:TRAP_HANDLER: 0
; COMPUTE_PGM_RSRC2:TGID_X_EN: 1
; COMPUTE_PGM_RSRC2:TGID_Y_EN: 0
; COMPUTE_PGM_RSRC2:TGID_Z_EN: 0
; COMPUTE_PGM_RSRC2:TIDIG_COMP_CNT: 0
	.section	.text._Z17flag_heads_kernelIhbN6hipcub8EqualityELj255ELj1EEvPT_Px,"axG",@progbits,_Z17flag_heads_kernelIhbN6hipcub8EqualityELj255ELj1EEvPT_Px,comdat
	.protected	_Z17flag_heads_kernelIhbN6hipcub8EqualityELj255ELj1EEvPT_Px ; -- Begin function _Z17flag_heads_kernelIhbN6hipcub8EqualityELj255ELj1EEvPT_Px
	.globl	_Z17flag_heads_kernelIhbN6hipcub8EqualityELj255ELj1EEvPT_Px
	.p2align	8
	.type	_Z17flag_heads_kernelIhbN6hipcub8EqualityELj255ELj1EEvPT_Px,@function
_Z17flag_heads_kernelIhbN6hipcub8EqualityELj255ELj1EEvPT_Px: ; @_Z17flag_heads_kernelIhbN6hipcub8EqualityELj255ELj1EEvPT_Px
; %bb.0:
	s_load_dwordx4 s[0:3], s[4:5], 0x0
	s_mul_i32 s4, s6, 0xff
	s_mov_b32 s5, 0
	v_cmp_ne_u32_e32 vcc_lo, 0, v0
	s_waitcnt lgkmcnt(0)
	s_add_u32 s8, s0, s4
	s_addc_u32 s9, s1, 0
	s_bitcmp0_b32 s6, 0
	global_load_ubyte v1, v0, s[8:9]
	s_cbranch_scc1 .LBB10_4
; %bb.1:
	s_add_i32 s6, s4, -1
	s_waitcnt vmcnt(0)
	ds_write_b8 v0, v1
	v_mov_b32_e32 v2, s6
	global_load_ubyte v2, v2, s[0:1]
	s_waitcnt vmcnt(0) lgkmcnt(0)
	s_barrier
	buffer_gl0_inv
	s_and_saveexec_b32 s0, vcc_lo
; %bb.2:
	v_add_nc_u32_e32 v2, -1, v0
	ds_read_u8 v2, v2
; %bb.3:
	s_or_b32 exec_lo, exec_lo, s0
	s_waitcnt lgkmcnt(0)
	v_cmp_eq_u16_sdwa s0, v2, v1 src0_sel:BYTE_0 src1_sel:BYTE_0
	s_branch .LBB10_8
.LBB10_4:
                                        ; implicit-def: $sgpr0
	s_cbranch_execz .LBB10_8
; %bb.5:
	s_mov_b32 s0, -1
	s_mov_b32 s1, exec_lo
	s_waitcnt vmcnt(0)
	ds_write_b8 v0, v1
	s_waitcnt lgkmcnt(0)
	s_barrier
	buffer_gl0_inv
	v_cmpx_ne_u32_e32 0, v0
	s_cbranch_execz .LBB10_7
; %bb.6:
	v_add_nc_u32_e32 v2, -1, v0
	ds_read_u8 v2, v2
	s_waitcnt lgkmcnt(0)
	v_cmp_eq_u16_sdwa s0, v2, v1 src0_sel:DWORD src1_sel:BYTE_0
	s_orn2_b32 s0, s0, exec_lo
.LBB10_7:
	s_or_b32 exec_lo, exec_lo, s1
.LBB10_8:
	s_mov_b32 s1, 0
	s_lshl_b64 s[4:5], s[4:5], 3
	v_lshlrev_b32_e32 v2, 3, v0
	v_cndmask_b32_e64 v0, 0, 1, s0
	s_waitcnt vmcnt(0)
	v_mov_b32_e32 v1, s1
	s_add_u32 s0, s2, s4
	s_addc_u32 s1, s3, s5
	global_store_dwordx2 v2, v[0:1], s[0:1]
	s_endpgm
	.section	.rodata,"a",@progbits
	.p2align	6, 0x0
	.amdhsa_kernel _Z17flag_heads_kernelIhbN6hipcub8EqualityELj255ELj1EEvPT_Px
		.amdhsa_group_segment_fixed_size 510
		.amdhsa_private_segment_fixed_size 0
		.amdhsa_kernarg_size 16
		.amdhsa_user_sgpr_count 6
		.amdhsa_user_sgpr_private_segment_buffer 1
		.amdhsa_user_sgpr_dispatch_ptr 0
		.amdhsa_user_sgpr_queue_ptr 0
		.amdhsa_user_sgpr_kernarg_segment_ptr 1
		.amdhsa_user_sgpr_dispatch_id 0
		.amdhsa_user_sgpr_flat_scratch_init 0
		.amdhsa_user_sgpr_private_segment_size 0
		.amdhsa_wavefront_size32 1
		.amdhsa_uses_dynamic_stack 0
		.amdhsa_system_sgpr_private_segment_wavefront_offset 0
		.amdhsa_system_sgpr_workgroup_id_x 1
		.amdhsa_system_sgpr_workgroup_id_y 0
		.amdhsa_system_sgpr_workgroup_id_z 0
		.amdhsa_system_sgpr_workgroup_info 0
		.amdhsa_system_vgpr_workitem_id 0
		.amdhsa_next_free_vgpr 3
		.amdhsa_next_free_sgpr 10
		.amdhsa_reserve_vcc 1
		.amdhsa_reserve_flat_scratch 0
		.amdhsa_float_round_mode_32 0
		.amdhsa_float_round_mode_16_64 0
		.amdhsa_float_denorm_mode_32 3
		.amdhsa_float_denorm_mode_16_64 3
		.amdhsa_dx10_clamp 1
		.amdhsa_ieee_mode 1
		.amdhsa_fp16_overflow 0
		.amdhsa_workgroup_processor_mode 1
		.amdhsa_memory_ordered 1
		.amdhsa_forward_progress 1
		.amdhsa_shared_vgpr_count 0
		.amdhsa_exception_fp_ieee_invalid_op 0
		.amdhsa_exception_fp_denorm_src 0
		.amdhsa_exception_fp_ieee_div_zero 0
		.amdhsa_exception_fp_ieee_overflow 0
		.amdhsa_exception_fp_ieee_underflow 0
		.amdhsa_exception_fp_ieee_inexact 0
		.amdhsa_exception_int_div_zero 0
	.end_amdhsa_kernel
	.section	.text._Z17flag_heads_kernelIhbN6hipcub8EqualityELj255ELj1EEvPT_Px,"axG",@progbits,_Z17flag_heads_kernelIhbN6hipcub8EqualityELj255ELj1EEvPT_Px,comdat
.Lfunc_end10:
	.size	_Z17flag_heads_kernelIhbN6hipcub8EqualityELj255ELj1EEvPT_Px, .Lfunc_end10-_Z17flag_heads_kernelIhbN6hipcub8EqualityELj255ELj1EEvPT_Px
                                        ; -- End function
	.set _Z17flag_heads_kernelIhbN6hipcub8EqualityELj255ELj1EEvPT_Px.num_vgpr, 3
	.set _Z17flag_heads_kernelIhbN6hipcub8EqualityELj255ELj1EEvPT_Px.num_agpr, 0
	.set _Z17flag_heads_kernelIhbN6hipcub8EqualityELj255ELj1EEvPT_Px.numbered_sgpr, 10
	.set _Z17flag_heads_kernelIhbN6hipcub8EqualityELj255ELj1EEvPT_Px.num_named_barrier, 0
	.set _Z17flag_heads_kernelIhbN6hipcub8EqualityELj255ELj1EEvPT_Px.private_seg_size, 0
	.set _Z17flag_heads_kernelIhbN6hipcub8EqualityELj255ELj1EEvPT_Px.uses_vcc, 1
	.set _Z17flag_heads_kernelIhbN6hipcub8EqualityELj255ELj1EEvPT_Px.uses_flat_scratch, 0
	.set _Z17flag_heads_kernelIhbN6hipcub8EqualityELj255ELj1EEvPT_Px.has_dyn_sized_stack, 0
	.set _Z17flag_heads_kernelIhbN6hipcub8EqualityELj255ELj1EEvPT_Px.has_recursion, 0
	.set _Z17flag_heads_kernelIhbN6hipcub8EqualityELj255ELj1EEvPT_Px.has_indirect_call, 0
	.section	.AMDGPU.csdata,"",@progbits
; Kernel info:
; codeLenInByte = 260
; TotalNumSgprs: 12
; NumVgprs: 3
; ScratchSize: 0
; MemoryBound: 0
; FloatMode: 240
; IeeeMode: 1
; LDSByteSize: 510 bytes/workgroup (compile time only)
; SGPRBlocks: 0
; VGPRBlocks: 0
; NumSGPRsForWavesPerEU: 12
; NumVGPRsForWavesPerEU: 3
; Occupancy: 16
; WaveLimiterHint : 0
; COMPUTE_PGM_RSRC2:SCRATCH_EN: 0
; COMPUTE_PGM_RSRC2:USER_SGPR: 6
; COMPUTE_PGM_RSRC2:TRAP_HANDLER: 0
; COMPUTE_PGM_RSRC2:TGID_X_EN: 1
; COMPUTE_PGM_RSRC2:TGID_Y_EN: 0
; COMPUTE_PGM_RSRC2:TGID_Z_EN: 0
; COMPUTE_PGM_RSRC2:TIDIG_COMP_CNT: 0
	.section	.text._Z17flag_heads_kernelIjxN6hipcub10InequalityELj162ELj1EEvPT_Px,"axG",@progbits,_Z17flag_heads_kernelIjxN6hipcub10InequalityELj162ELj1EEvPT_Px,comdat
	.protected	_Z17flag_heads_kernelIjxN6hipcub10InequalityELj162ELj1EEvPT_Px ; -- Begin function _Z17flag_heads_kernelIjxN6hipcub10InequalityELj162ELj1EEvPT_Px
	.globl	_Z17flag_heads_kernelIjxN6hipcub10InequalityELj162ELj1EEvPT_Px
	.p2align	8
	.type	_Z17flag_heads_kernelIjxN6hipcub10InequalityELj162ELj1EEvPT_Px,@function
_Z17flag_heads_kernelIjxN6hipcub10InequalityELj162ELj1EEvPT_Px: ; @_Z17flag_heads_kernelIjxN6hipcub10InequalityELj162ELj1EEvPT_Px
; %bb.0:
	s_load_dwordx4 s[0:3], s[4:5], 0x0
	s_mul_i32 s4, s6, 0xa2
	s_mov_b32 s5, 0
	v_lshlrev_b32_e32 v1, 2, v0
	s_lshl_b64 s[8:9], s[4:5], 2
	v_cmp_ne_u32_e32 vcc_lo, 0, v0
	s_waitcnt lgkmcnt(0)
	s_add_u32 s8, s0, s8
	s_addc_u32 s9, s1, s9
	s_bitcmp0_b32 s6, 0
	global_load_dword v2, v1, s[8:9]
	s_cbranch_scc1 .LBB11_4
; %bb.1:
	s_add_i32 s6, s4, -1
	s_mov_b32 s7, s5
	s_waitcnt vmcnt(0)
	ds_write_b32 v1, v2
	s_lshl_b64 s[6:7], s[6:7], 2
	s_add_u32 s0, s0, s6
	s_addc_u32 s1, s1, s7
	s_load_dword s0, s[0:1], 0x0
	s_waitcnt lgkmcnt(0)
	s_barrier
	buffer_gl0_inv
	v_mov_b32_e32 v3, s0
	s_and_saveexec_b32 s0, vcc_lo
; %bb.2:
	v_add_nc_u32_e32 v3, -4, v1
	ds_read_b32 v3, v3
; %bb.3:
	s_or_b32 exec_lo, exec_lo, s0
	s_waitcnt lgkmcnt(0)
	v_cmp_ne_u32_e64 s0, v3, v2
	s_branch .LBB11_8
.LBB11_4:
                                        ; implicit-def: $sgpr0
	s_cbranch_execz .LBB11_8
; %bb.5:
	s_mov_b32 s0, -1
	s_mov_b32 s1, exec_lo
	s_waitcnt vmcnt(0)
	ds_write_b32 v1, v2
	s_waitcnt lgkmcnt(0)
	s_barrier
	buffer_gl0_inv
	v_cmpx_ne_u32_e32 0, v0
	s_cbranch_execz .LBB11_7
; %bb.6:
	v_add_nc_u32_e32 v1, -4, v1
	ds_read_b32 v1, v1
	s_waitcnt lgkmcnt(0)
	v_cmp_ne_u32_e32 vcc_lo, v1, v2
	s_orn2_b32 s0, vcc_lo, exec_lo
.LBB11_7:
	s_or_b32 exec_lo, exec_lo, s1
.LBB11_8:
	s_mov_b32 s1, 0
	v_cndmask_b32_e64 v1, 0, 1, s0
	s_waitcnt vmcnt(0)
	v_mov_b32_e32 v2, s1
	s_lshl_b64 s[0:1], s[4:5], 3
	v_lshlrev_b32_e32 v0, 3, v0
	s_add_u32 s0, s2, s0
	s_addc_u32 s1, s3, s1
	global_store_dwordx2 v0, v[1:2], s[0:1]
	s_endpgm
	.section	.rodata,"a",@progbits
	.p2align	6, 0x0
	.amdhsa_kernel _Z17flag_heads_kernelIjxN6hipcub10InequalityELj162ELj1EEvPT_Px
		.amdhsa_group_segment_fixed_size 1296
		.amdhsa_private_segment_fixed_size 0
		.amdhsa_kernarg_size 16
		.amdhsa_user_sgpr_count 6
		.amdhsa_user_sgpr_private_segment_buffer 1
		.amdhsa_user_sgpr_dispatch_ptr 0
		.amdhsa_user_sgpr_queue_ptr 0
		.amdhsa_user_sgpr_kernarg_segment_ptr 1
		.amdhsa_user_sgpr_dispatch_id 0
		.amdhsa_user_sgpr_flat_scratch_init 0
		.amdhsa_user_sgpr_private_segment_size 0
		.amdhsa_wavefront_size32 1
		.amdhsa_uses_dynamic_stack 0
		.amdhsa_system_sgpr_private_segment_wavefront_offset 0
		.amdhsa_system_sgpr_workgroup_id_x 1
		.amdhsa_system_sgpr_workgroup_id_y 0
		.amdhsa_system_sgpr_workgroup_id_z 0
		.amdhsa_system_sgpr_workgroup_info 0
		.amdhsa_system_vgpr_workitem_id 0
		.amdhsa_next_free_vgpr 4
		.amdhsa_next_free_sgpr 10
		.amdhsa_reserve_vcc 1
		.amdhsa_reserve_flat_scratch 0
		.amdhsa_float_round_mode_32 0
		.amdhsa_float_round_mode_16_64 0
		.amdhsa_float_denorm_mode_32 3
		.amdhsa_float_denorm_mode_16_64 3
		.amdhsa_dx10_clamp 1
		.amdhsa_ieee_mode 1
		.amdhsa_fp16_overflow 0
		.amdhsa_workgroup_processor_mode 1
		.amdhsa_memory_ordered 1
		.amdhsa_forward_progress 1
		.amdhsa_shared_vgpr_count 0
		.amdhsa_exception_fp_ieee_invalid_op 0
		.amdhsa_exception_fp_denorm_src 0
		.amdhsa_exception_fp_ieee_div_zero 0
		.amdhsa_exception_fp_ieee_overflow 0
		.amdhsa_exception_fp_ieee_underflow 0
		.amdhsa_exception_fp_ieee_inexact 0
		.amdhsa_exception_int_div_zero 0
	.end_amdhsa_kernel
	.section	.text._Z17flag_heads_kernelIjxN6hipcub10InequalityELj162ELj1EEvPT_Px,"axG",@progbits,_Z17flag_heads_kernelIjxN6hipcub10InequalityELj162ELj1EEvPT_Px,comdat
.Lfunc_end11:
	.size	_Z17flag_heads_kernelIjxN6hipcub10InequalityELj162ELj1EEvPT_Px, .Lfunc_end11-_Z17flag_heads_kernelIjxN6hipcub10InequalityELj162ELj1EEvPT_Px
                                        ; -- End function
	.set _Z17flag_heads_kernelIjxN6hipcub10InequalityELj162ELj1EEvPT_Px.num_vgpr, 4
	.set _Z17flag_heads_kernelIjxN6hipcub10InequalityELj162ELj1EEvPT_Px.num_agpr, 0
	.set _Z17flag_heads_kernelIjxN6hipcub10InequalityELj162ELj1EEvPT_Px.numbered_sgpr, 10
	.set _Z17flag_heads_kernelIjxN6hipcub10InequalityELj162ELj1EEvPT_Px.num_named_barrier, 0
	.set _Z17flag_heads_kernelIjxN6hipcub10InequalityELj162ELj1EEvPT_Px.private_seg_size, 0
	.set _Z17flag_heads_kernelIjxN6hipcub10InequalityELj162ELj1EEvPT_Px.uses_vcc, 1
	.set _Z17flag_heads_kernelIjxN6hipcub10InequalityELj162ELj1EEvPT_Px.uses_flat_scratch, 0
	.set _Z17flag_heads_kernelIjxN6hipcub10InequalityELj162ELj1EEvPT_Px.has_dyn_sized_stack, 0
	.set _Z17flag_heads_kernelIjxN6hipcub10InequalityELj162ELj1EEvPT_Px.has_recursion, 0
	.set _Z17flag_heads_kernelIjxN6hipcub10InequalityELj162ELj1EEvPT_Px.has_indirect_call, 0
	.section	.AMDGPU.csdata,"",@progbits
; Kernel info:
; codeLenInByte = 280
; TotalNumSgprs: 12
; NumVgprs: 4
; ScratchSize: 0
; MemoryBound: 0
; FloatMode: 240
; IeeeMode: 1
; LDSByteSize: 1296 bytes/workgroup (compile time only)
; SGPRBlocks: 0
; VGPRBlocks: 0
; NumSGPRsForWavesPerEU: 12
; NumVGPRsForWavesPerEU: 4
; Occupancy: 16
; WaveLimiterHint : 0
; COMPUTE_PGM_RSRC2:SCRATCH_EN: 0
; COMPUTE_PGM_RSRC2:USER_SGPR: 6
; COMPUTE_PGM_RSRC2:TRAP_HANDLER: 0
; COMPUTE_PGM_RSRC2:TGID_X_EN: 1
; COMPUTE_PGM_RSRC2:TGID_Y_EN: 0
; COMPUTE_PGM_RSRC2:TGID_Z_EN: 0
; COMPUTE_PGM_RSRC2:TIDIG_COMP_CNT: 0
	.section	.text._Z17flag_heads_kernelIxcN10test_utils13greater_equalELj510ELj1EEvPT_Px,"axG",@progbits,_Z17flag_heads_kernelIxcN10test_utils13greater_equalELj510ELj1EEvPT_Px,comdat
	.protected	_Z17flag_heads_kernelIxcN10test_utils13greater_equalELj510ELj1EEvPT_Px ; -- Begin function _Z17flag_heads_kernelIxcN10test_utils13greater_equalELj510ELj1EEvPT_Px
	.globl	_Z17flag_heads_kernelIxcN10test_utils13greater_equalELj510ELj1EEvPT_Px
	.p2align	8
	.type	_Z17flag_heads_kernelIxcN10test_utils13greater_equalELj510ELj1EEvPT_Px,@function
_Z17flag_heads_kernelIxcN10test_utils13greater_equalELj510ELj1EEvPT_Px: ; @_Z17flag_heads_kernelIxcN10test_utils13greater_equalELj510ELj1EEvPT_Px
; %bb.0:
	s_load_dwordx4 s[0:3], s[4:5], 0x0
	s_mul_i32 s8, s6, 0x1fe
	s_mov_b32 s9, 0
	v_lshlrev_b32_e32 v5, 3, v0
	s_lshl_b64 s[4:5], s[8:9], 3
	v_cmp_ne_u32_e32 vcc_lo, 0, v0
	s_waitcnt lgkmcnt(0)
	s_add_u32 s10, s0, s4
	s_addc_u32 s11, s1, s5
	s_bitcmp0_b32 s6, 0
	global_load_dwordx2 v[1:2], v5, s[10:11]
	s_cbranch_scc1 .LBB12_4
; %bb.1:
	s_add_i32 s8, s8, -1
	s_waitcnt vmcnt(0)
	ds_write_b64 v5, v[1:2]
	s_lshl_b64 s[6:7], s[8:9], 3
	s_add_u32 s0, s0, s6
	s_addc_u32 s1, s1, s7
	s_load_dwordx2 s[0:1], s[0:1], 0x0
	s_waitcnt lgkmcnt(0)
	s_barrier
	buffer_gl0_inv
	v_mov_b32_e32 v4, s1
	v_mov_b32_e32 v3, s0
	s_and_saveexec_b32 s0, vcc_lo
; %bb.2:
	v_add_nc_u32_e32 v3, -8, v5
	ds_read_b64 v[3:4], v3
; %bb.3:
	s_or_b32 exec_lo, exec_lo, s0
	s_waitcnt lgkmcnt(0)
	v_cmp_ge_i64_e64 s0, v[3:4], v[1:2]
	s_branch .LBB12_8
.LBB12_4:
                                        ; implicit-def: $sgpr0
	s_cbranch_execz .LBB12_8
; %bb.5:
	s_mov_b32 s0, -1
	s_mov_b32 s1, exec_lo
	s_waitcnt vmcnt(0)
	ds_write_b64 v5, v[1:2]
	s_waitcnt lgkmcnt(0)
	s_barrier
	buffer_gl0_inv
	v_cmpx_ne_u32_e32 0, v0
	s_cbranch_execz .LBB12_7
; %bb.6:
	v_add_nc_u32_e32 v0, -8, v5
	ds_read_b64 v[3:4], v0
	s_waitcnt lgkmcnt(0)
	v_cmp_ge_i64_e32 vcc_lo, v[3:4], v[1:2]
	s_orn2_b32 s0, vcc_lo, exec_lo
.LBB12_7:
	s_or_b32 exec_lo, exec_lo, s1
.LBB12_8:
	s_mov_b32 s1, 0
	v_cndmask_b32_e64 v0, 0, 1, s0
	s_waitcnt vmcnt(0)
	v_mov_b32_e32 v1, s1
	s_add_u32 s0, s2, s4
	s_addc_u32 s1, s3, s5
	global_store_dwordx2 v5, v[0:1], s[0:1]
	s_endpgm
	.section	.rodata,"a",@progbits
	.p2align	6, 0x0
	.amdhsa_kernel _Z17flag_heads_kernelIxcN10test_utils13greater_equalELj510ELj1EEvPT_Px
		.amdhsa_group_segment_fixed_size 8160
		.amdhsa_private_segment_fixed_size 0
		.amdhsa_kernarg_size 16
		.amdhsa_user_sgpr_count 6
		.amdhsa_user_sgpr_private_segment_buffer 1
		.amdhsa_user_sgpr_dispatch_ptr 0
		.amdhsa_user_sgpr_queue_ptr 0
		.amdhsa_user_sgpr_kernarg_segment_ptr 1
		.amdhsa_user_sgpr_dispatch_id 0
		.amdhsa_user_sgpr_flat_scratch_init 0
		.amdhsa_user_sgpr_private_segment_size 0
		.amdhsa_wavefront_size32 1
		.amdhsa_uses_dynamic_stack 0
		.amdhsa_system_sgpr_private_segment_wavefront_offset 0
		.amdhsa_system_sgpr_workgroup_id_x 1
		.amdhsa_system_sgpr_workgroup_id_y 0
		.amdhsa_system_sgpr_workgroup_id_z 0
		.amdhsa_system_sgpr_workgroup_info 0
		.amdhsa_system_vgpr_workitem_id 0
		.amdhsa_next_free_vgpr 6
		.amdhsa_next_free_sgpr 12
		.amdhsa_reserve_vcc 1
		.amdhsa_reserve_flat_scratch 0
		.amdhsa_float_round_mode_32 0
		.amdhsa_float_round_mode_16_64 0
		.amdhsa_float_denorm_mode_32 3
		.amdhsa_float_denorm_mode_16_64 3
		.amdhsa_dx10_clamp 1
		.amdhsa_ieee_mode 1
		.amdhsa_fp16_overflow 0
		.amdhsa_workgroup_processor_mode 1
		.amdhsa_memory_ordered 1
		.amdhsa_forward_progress 1
		.amdhsa_shared_vgpr_count 0
		.amdhsa_exception_fp_ieee_invalid_op 0
		.amdhsa_exception_fp_denorm_src 0
		.amdhsa_exception_fp_ieee_div_zero 0
		.amdhsa_exception_fp_ieee_overflow 0
		.amdhsa_exception_fp_ieee_underflow 0
		.amdhsa_exception_fp_ieee_inexact 0
		.amdhsa_exception_int_div_zero 0
	.end_amdhsa_kernel
	.section	.text._Z17flag_heads_kernelIxcN10test_utils13greater_equalELj510ELj1EEvPT_Px,"axG",@progbits,_Z17flag_heads_kernelIxcN10test_utils13greater_equalELj510ELj1EEvPT_Px,comdat
.Lfunc_end12:
	.size	_Z17flag_heads_kernelIxcN10test_utils13greater_equalELj510ELj1EEvPT_Px, .Lfunc_end12-_Z17flag_heads_kernelIxcN10test_utils13greater_equalELj510ELj1EEvPT_Px
                                        ; -- End function
	.set _Z17flag_heads_kernelIxcN10test_utils13greater_equalELj510ELj1EEvPT_Px.num_vgpr, 6
	.set _Z17flag_heads_kernelIxcN10test_utils13greater_equalELj510ELj1EEvPT_Px.num_agpr, 0
	.set _Z17flag_heads_kernelIxcN10test_utils13greater_equalELj510ELj1EEvPT_Px.numbered_sgpr, 12
	.set _Z17flag_heads_kernelIxcN10test_utils13greater_equalELj510ELj1EEvPT_Px.num_named_barrier, 0
	.set _Z17flag_heads_kernelIxcN10test_utils13greater_equalELj510ELj1EEvPT_Px.private_seg_size, 0
	.set _Z17flag_heads_kernelIxcN10test_utils13greater_equalELj510ELj1EEvPT_Px.uses_vcc, 1
	.set _Z17flag_heads_kernelIxcN10test_utils13greater_equalELj510ELj1EEvPT_Px.uses_flat_scratch, 0
	.set _Z17flag_heads_kernelIxcN10test_utils13greater_equalELj510ELj1EEvPT_Px.has_dyn_sized_stack, 0
	.set _Z17flag_heads_kernelIxcN10test_utils13greater_equalELj510ELj1EEvPT_Px.has_recursion, 0
	.set _Z17flag_heads_kernelIxcN10test_utils13greater_equalELj510ELj1EEvPT_Px.has_indirect_call, 0
	.section	.AMDGPU.csdata,"",@progbits
; Kernel info:
; codeLenInByte = 272
; TotalNumSgprs: 14
; NumVgprs: 6
; ScratchSize: 0
; MemoryBound: 0
; FloatMode: 240
; IeeeMode: 1
; LDSByteSize: 8160 bytes/workgroup (compile time only)
; SGPRBlocks: 0
; VGPRBlocks: 0
; NumSGPRsForWavesPerEU: 14
; NumVGPRsForWavesPerEU: 6
; Occupancy: 16
; WaveLimiterHint : 0
; COMPUTE_PGM_RSRC2:SCRATCH_EN: 0
; COMPUTE_PGM_RSRC2:USER_SGPR: 6
; COMPUTE_PGM_RSRC2:TRAP_HANDLER: 0
; COMPUTE_PGM_RSRC2:TGID_X_EN: 1
; COMPUTE_PGM_RSRC2:TGID_Y_EN: 0
; COMPUTE_PGM_RSRC2:TGID_Z_EN: 0
; COMPUTE_PGM_RSRC2:TIDIG_COMP_CNT: 0
	.section	.text._Z17flag_heads_kernelI12hip_bfloat16iN10test_utils7greaterELj37ELj1EEvPT_Px,"axG",@progbits,_Z17flag_heads_kernelI12hip_bfloat16iN10test_utils7greaterELj37ELj1EEvPT_Px,comdat
	.protected	_Z17flag_heads_kernelI12hip_bfloat16iN10test_utils7greaterELj37ELj1EEvPT_Px ; -- Begin function _Z17flag_heads_kernelI12hip_bfloat16iN10test_utils7greaterELj37ELj1EEvPT_Px
	.globl	_Z17flag_heads_kernelI12hip_bfloat16iN10test_utils7greaterELj37ELj1EEvPT_Px
	.p2align	8
	.type	_Z17flag_heads_kernelI12hip_bfloat16iN10test_utils7greaterELj37ELj1EEvPT_Px,@function
_Z17flag_heads_kernelI12hip_bfloat16iN10test_utils7greaterELj37ELj1EEvPT_Px: ; @_Z17flag_heads_kernelI12hip_bfloat16iN10test_utils7greaterELj37ELj1EEvPT_Px
; %bb.0:
	s_load_dwordx4 s[0:3], s[4:5], 0x0
	s_mul_i32 s4, s6, 37
	s_mov_b32 s5, 0
	v_lshlrev_b32_e32 v2, 1, v0
	s_lshl_b64 s[8:9], s[4:5], 1
	v_mov_b32_e32 v3, 0
	v_cmp_ne_u32_e32 vcc_lo, 0, v0
	s_waitcnt lgkmcnt(0)
	s_add_u32 s8, s0, s8
	s_addc_u32 s9, s1, s9
	s_bitcmp0_b32 s6, 0
	global_load_ushort v1, v2, s[8:9]
	s_cbranch_scc1 .LBB13_4
; %bb.1:
	s_add_i32 s6, s4, -1
	s_mov_b32 s7, s5
	s_waitcnt vmcnt(0)
	ds_write_b16 v2, v1
	s_lshl_b64 s[6:7], s[6:7], 1
	s_add_u32 s0, s0, s6
	s_addc_u32 s1, s1, s7
	global_load_ushort v3, v3, s[0:1]
	s_waitcnt vmcnt(0) lgkmcnt(0)
	s_barrier
	buffer_gl0_inv
	s_and_saveexec_b32 s0, vcc_lo
; %bb.2:
	v_add_nc_u32_e32 v3, -2, v2
	ds_read_u16 v3, v3
; %bb.3:
	s_or_b32 exec_lo, exec_lo, s0
	v_lshlrev_b32_e32 v4, 16, v1
	s_waitcnt lgkmcnt(0)
	v_lshlrev_b32_e32 v3, 16, v3
	v_cmp_lt_f32_e64 s0, v4, v3
	s_branch .LBB13_8
.LBB13_4:
                                        ; implicit-def: $sgpr0
	s_cbranch_execz .LBB13_8
; %bb.5:
	s_mov_b32 s0, -1
	s_mov_b32 s1, exec_lo
	s_waitcnt vmcnt(0)
	ds_write_b16 v2, v1
	s_waitcnt lgkmcnt(0)
	s_barrier
	buffer_gl0_inv
	v_cmpx_ne_u32_e32 0, v0
	s_cbranch_execz .LBB13_7
; %bb.6:
	v_add_nc_u32_e32 v2, -2, v2
	v_lshlrev_b32_e32 v1, 16, v1
	ds_read_u16 v2, v2
	s_waitcnt lgkmcnt(0)
	v_lshlrev_b32_e32 v2, 16, v2
	v_cmp_lt_f32_e32 vcc_lo, v1, v2
	s_orn2_b32 s0, vcc_lo, exec_lo
.LBB13_7:
	s_or_b32 exec_lo, exec_lo, s1
.LBB13_8:
	s_mov_b32 s1, 0
	s_lshl_b64 s[4:5], s[4:5], 3
	v_lshlrev_b32_e32 v2, 3, v0
	v_cndmask_b32_e64 v0, 0, 1, s0
	s_waitcnt vmcnt(0)
	v_mov_b32_e32 v1, s1
	s_add_u32 s0, s2, s4
	s_addc_u32 s1, s3, s5
	global_store_dwordx2 v2, v[0:1], s[0:1]
	s_endpgm
	.section	.rodata,"a",@progbits
	.p2align	6, 0x0
	.amdhsa_kernel _Z17flag_heads_kernelI12hip_bfloat16iN10test_utils7greaterELj37ELj1EEvPT_Px
		.amdhsa_group_segment_fixed_size 148
		.amdhsa_private_segment_fixed_size 0
		.amdhsa_kernarg_size 16
		.amdhsa_user_sgpr_count 6
		.amdhsa_user_sgpr_private_segment_buffer 1
		.amdhsa_user_sgpr_dispatch_ptr 0
		.amdhsa_user_sgpr_queue_ptr 0
		.amdhsa_user_sgpr_kernarg_segment_ptr 1
		.amdhsa_user_sgpr_dispatch_id 0
		.amdhsa_user_sgpr_flat_scratch_init 0
		.amdhsa_user_sgpr_private_segment_size 0
		.amdhsa_wavefront_size32 1
		.amdhsa_uses_dynamic_stack 0
		.amdhsa_system_sgpr_private_segment_wavefront_offset 0
		.amdhsa_system_sgpr_workgroup_id_x 1
		.amdhsa_system_sgpr_workgroup_id_y 0
		.amdhsa_system_sgpr_workgroup_id_z 0
		.amdhsa_system_sgpr_workgroup_info 0
		.amdhsa_system_vgpr_workitem_id 0
		.amdhsa_next_free_vgpr 5
		.amdhsa_next_free_sgpr 10
		.amdhsa_reserve_vcc 1
		.amdhsa_reserve_flat_scratch 0
		.amdhsa_float_round_mode_32 0
		.amdhsa_float_round_mode_16_64 0
		.amdhsa_float_denorm_mode_32 3
		.amdhsa_float_denorm_mode_16_64 3
		.amdhsa_dx10_clamp 1
		.amdhsa_ieee_mode 1
		.amdhsa_fp16_overflow 0
		.amdhsa_workgroup_processor_mode 1
		.amdhsa_memory_ordered 1
		.amdhsa_forward_progress 1
		.amdhsa_shared_vgpr_count 0
		.amdhsa_exception_fp_ieee_invalid_op 0
		.amdhsa_exception_fp_denorm_src 0
		.amdhsa_exception_fp_ieee_div_zero 0
		.amdhsa_exception_fp_ieee_overflow 0
		.amdhsa_exception_fp_ieee_underflow 0
		.amdhsa_exception_fp_ieee_inexact 0
		.amdhsa_exception_int_div_zero 0
	.end_amdhsa_kernel
	.section	.text._Z17flag_heads_kernelI12hip_bfloat16iN10test_utils7greaterELj37ELj1EEvPT_Px,"axG",@progbits,_Z17flag_heads_kernelI12hip_bfloat16iN10test_utils7greaterELj37ELj1EEvPT_Px,comdat
.Lfunc_end13:
	.size	_Z17flag_heads_kernelI12hip_bfloat16iN10test_utils7greaterELj37ELj1EEvPT_Px, .Lfunc_end13-_Z17flag_heads_kernelI12hip_bfloat16iN10test_utils7greaterELj37ELj1EEvPT_Px
                                        ; -- End function
	.set _Z17flag_heads_kernelI12hip_bfloat16iN10test_utils7greaterELj37ELj1EEvPT_Px.num_vgpr, 5
	.set _Z17flag_heads_kernelI12hip_bfloat16iN10test_utils7greaterELj37ELj1EEvPT_Px.num_agpr, 0
	.set _Z17flag_heads_kernelI12hip_bfloat16iN10test_utils7greaterELj37ELj1EEvPT_Px.numbered_sgpr, 10
	.set _Z17flag_heads_kernelI12hip_bfloat16iN10test_utils7greaterELj37ELj1EEvPT_Px.num_named_barrier, 0
	.set _Z17flag_heads_kernelI12hip_bfloat16iN10test_utils7greaterELj37ELj1EEvPT_Px.private_seg_size, 0
	.set _Z17flag_heads_kernelI12hip_bfloat16iN10test_utils7greaterELj37ELj1EEvPT_Px.uses_vcc, 1
	.set _Z17flag_heads_kernelI12hip_bfloat16iN10test_utils7greaterELj37ELj1EEvPT_Px.uses_flat_scratch, 0
	.set _Z17flag_heads_kernelI12hip_bfloat16iN10test_utils7greaterELj37ELj1EEvPT_Px.has_dyn_sized_stack, 0
	.set _Z17flag_heads_kernelI12hip_bfloat16iN10test_utils7greaterELj37ELj1EEvPT_Px.has_recursion, 0
	.set _Z17flag_heads_kernelI12hip_bfloat16iN10test_utils7greaterELj37ELj1EEvPT_Px.has_indirect_call, 0
	.section	.AMDGPU.csdata,"",@progbits
; Kernel info:
; codeLenInByte = 292
; TotalNumSgprs: 12
; NumVgprs: 5
; ScratchSize: 0
; MemoryBound: 0
; FloatMode: 240
; IeeeMode: 1
; LDSByteSize: 148 bytes/workgroup (compile time only)
; SGPRBlocks: 0
; VGPRBlocks: 0
; NumSGPRsForWavesPerEU: 12
; NumVGPRsForWavesPerEU: 5
; Occupancy: 16
; WaveLimiterHint : 0
; COMPUTE_PGM_RSRC2:SCRATCH_EN: 0
; COMPUTE_PGM_RSRC2:USER_SGPR: 6
; COMPUTE_PGM_RSRC2:TRAP_HANDLER: 0
; COMPUTE_PGM_RSRC2:TGID_X_EN: 1
; COMPUTE_PGM_RSRC2:TGID_Y_EN: 0
; COMPUTE_PGM_RSRC2:TGID_Z_EN: 0
; COMPUTE_PGM_RSRC2:TIDIG_COMP_CNT: 0
	.section	.text._Z17flag_heads_kernelI6__halfiN10test_utils7greaterELj37ELj1EEvPT_Px,"axG",@progbits,_Z17flag_heads_kernelI6__halfiN10test_utils7greaterELj37ELj1EEvPT_Px,comdat
	.protected	_Z17flag_heads_kernelI6__halfiN10test_utils7greaterELj37ELj1EEvPT_Px ; -- Begin function _Z17flag_heads_kernelI6__halfiN10test_utils7greaterELj37ELj1EEvPT_Px
	.globl	_Z17flag_heads_kernelI6__halfiN10test_utils7greaterELj37ELj1EEvPT_Px
	.p2align	8
	.type	_Z17flag_heads_kernelI6__halfiN10test_utils7greaterELj37ELj1EEvPT_Px,@function
_Z17flag_heads_kernelI6__halfiN10test_utils7greaterELj37ELj1EEvPT_Px: ; @_Z17flag_heads_kernelI6__halfiN10test_utils7greaterELj37ELj1EEvPT_Px
; %bb.0:
	s_load_dwordx4 s[0:3], s[4:5], 0x0
	s_mul_i32 s4, s6, 37
	s_mov_b32 s5, 0
	v_lshlrev_b32_e32 v1, 1, v0
	s_lshl_b64 s[8:9], s[4:5], 1
	v_mov_b32_e32 v3, 0
	v_cmp_ne_u32_e32 vcc_lo, 0, v0
	s_waitcnt lgkmcnt(0)
	s_add_u32 s8, s0, s8
	s_addc_u32 s9, s1, s9
	s_bitcmp0_b32 s6, 0
	global_load_ushort v2, v1, s[8:9]
	s_cbranch_scc1 .LBB14_4
; %bb.1:
	s_add_i32 s6, s4, -1
	s_mov_b32 s7, s5
	s_waitcnt vmcnt(0)
	ds_write_b16 v1, v2
	s_lshl_b64 s[6:7], s[6:7], 1
	s_add_u32 s0, s0, s6
	s_addc_u32 s1, s1, s7
	global_load_ushort v3, v3, s[0:1]
	s_waitcnt vmcnt(0) lgkmcnt(0)
	s_barrier
	buffer_gl0_inv
	s_and_saveexec_b32 s0, vcc_lo
; %bb.2:
	v_add_nc_u32_e32 v3, -2, v1
	ds_read_u16 v3, v3
; %bb.3:
	s_or_b32 exec_lo, exec_lo, s0
	s_waitcnt lgkmcnt(0)
	v_cmp_gt_f16_e64 s0, v3, v2
	s_branch .LBB14_8
.LBB14_4:
                                        ; implicit-def: $sgpr0
	s_cbranch_execz .LBB14_8
; %bb.5:
	s_mov_b32 s0, -1
	s_mov_b32 s1, exec_lo
	s_waitcnt vmcnt(0)
	ds_write_b16 v1, v2
	s_waitcnt lgkmcnt(0)
	s_barrier
	buffer_gl0_inv
	v_cmpx_ne_u32_e32 0, v0
	s_cbranch_execz .LBB14_7
; %bb.6:
	v_add_nc_u32_e32 v1, -2, v1
	ds_read_u16 v1, v1
	s_waitcnt lgkmcnt(0)
	v_cmp_gt_f16_e32 vcc_lo, v1, v2
	s_orn2_b32 s0, vcc_lo, exec_lo
.LBB14_7:
	s_or_b32 exec_lo, exec_lo, s1
.LBB14_8:
	s_mov_b32 s1, 0
	s_lshl_b64 s[4:5], s[4:5], 3
	s_waitcnt vmcnt(0)
	v_lshlrev_b32_e32 v2, 3, v0
	v_cndmask_b32_e64 v0, 0, 1, s0
	v_mov_b32_e32 v1, s1
	s_add_u32 s0, s2, s4
	s_addc_u32 s1, s3, s5
	global_store_dwordx2 v2, v[0:1], s[0:1]
	s_endpgm
	.section	.rodata,"a",@progbits
	.p2align	6, 0x0
	.amdhsa_kernel _Z17flag_heads_kernelI6__halfiN10test_utils7greaterELj37ELj1EEvPT_Px
		.amdhsa_group_segment_fixed_size 148
		.amdhsa_private_segment_fixed_size 0
		.amdhsa_kernarg_size 16
		.amdhsa_user_sgpr_count 6
		.amdhsa_user_sgpr_private_segment_buffer 1
		.amdhsa_user_sgpr_dispatch_ptr 0
		.amdhsa_user_sgpr_queue_ptr 0
		.amdhsa_user_sgpr_kernarg_segment_ptr 1
		.amdhsa_user_sgpr_dispatch_id 0
		.amdhsa_user_sgpr_flat_scratch_init 0
		.amdhsa_user_sgpr_private_segment_size 0
		.amdhsa_wavefront_size32 1
		.amdhsa_uses_dynamic_stack 0
		.amdhsa_system_sgpr_private_segment_wavefront_offset 0
		.amdhsa_system_sgpr_workgroup_id_x 1
		.amdhsa_system_sgpr_workgroup_id_y 0
		.amdhsa_system_sgpr_workgroup_id_z 0
		.amdhsa_system_sgpr_workgroup_info 0
		.amdhsa_system_vgpr_workitem_id 0
		.amdhsa_next_free_vgpr 4
		.amdhsa_next_free_sgpr 10
		.amdhsa_reserve_vcc 1
		.amdhsa_reserve_flat_scratch 0
		.amdhsa_float_round_mode_32 0
		.amdhsa_float_round_mode_16_64 0
		.amdhsa_float_denorm_mode_32 3
		.amdhsa_float_denorm_mode_16_64 3
		.amdhsa_dx10_clamp 1
		.amdhsa_ieee_mode 1
		.amdhsa_fp16_overflow 0
		.amdhsa_workgroup_processor_mode 1
		.amdhsa_memory_ordered 1
		.amdhsa_forward_progress 1
		.amdhsa_shared_vgpr_count 0
		.amdhsa_exception_fp_ieee_invalid_op 0
		.amdhsa_exception_fp_denorm_src 0
		.amdhsa_exception_fp_ieee_div_zero 0
		.amdhsa_exception_fp_ieee_overflow 0
		.amdhsa_exception_fp_ieee_underflow 0
		.amdhsa_exception_fp_ieee_inexact 0
		.amdhsa_exception_int_div_zero 0
	.end_amdhsa_kernel
	.section	.text._Z17flag_heads_kernelI6__halfiN10test_utils7greaterELj37ELj1EEvPT_Px,"axG",@progbits,_Z17flag_heads_kernelI6__halfiN10test_utils7greaterELj37ELj1EEvPT_Px,comdat
.Lfunc_end14:
	.size	_Z17flag_heads_kernelI6__halfiN10test_utils7greaterELj37ELj1EEvPT_Px, .Lfunc_end14-_Z17flag_heads_kernelI6__halfiN10test_utils7greaterELj37ELj1EEvPT_Px
                                        ; -- End function
	.set _Z17flag_heads_kernelI6__halfiN10test_utils7greaterELj37ELj1EEvPT_Px.num_vgpr, 4
	.set _Z17flag_heads_kernelI6__halfiN10test_utils7greaterELj37ELj1EEvPT_Px.num_agpr, 0
	.set _Z17flag_heads_kernelI6__halfiN10test_utils7greaterELj37ELj1EEvPT_Px.numbered_sgpr, 10
	.set _Z17flag_heads_kernelI6__halfiN10test_utils7greaterELj37ELj1EEvPT_Px.num_named_barrier, 0
	.set _Z17flag_heads_kernelI6__halfiN10test_utils7greaterELj37ELj1EEvPT_Px.private_seg_size, 0
	.set _Z17flag_heads_kernelI6__halfiN10test_utils7greaterELj37ELj1EEvPT_Px.uses_vcc, 1
	.set _Z17flag_heads_kernelI6__halfiN10test_utils7greaterELj37ELj1EEvPT_Px.uses_flat_scratch, 0
	.set _Z17flag_heads_kernelI6__halfiN10test_utils7greaterELj37ELj1EEvPT_Px.has_dyn_sized_stack, 0
	.set _Z17flag_heads_kernelI6__halfiN10test_utils7greaterELj37ELj1EEvPT_Px.has_recursion, 0
	.set _Z17flag_heads_kernelI6__halfiN10test_utils7greaterELj37ELj1EEvPT_Px.has_indirect_call, 0
	.section	.AMDGPU.csdata,"",@progbits
; Kernel info:
; codeLenInByte = 276
; TotalNumSgprs: 12
; NumVgprs: 4
; ScratchSize: 0
; MemoryBound: 0
; FloatMode: 240
; IeeeMode: 1
; LDSByteSize: 148 bytes/workgroup (compile time only)
; SGPRBlocks: 0
; VGPRBlocks: 0
; NumSGPRsForWavesPerEU: 12
; NumVGPRsForWavesPerEU: 4
; Occupancy: 16
; WaveLimiterHint : 0
; COMPUTE_PGM_RSRC2:SCRATCH_EN: 0
; COMPUTE_PGM_RSRC2:USER_SGPR: 6
; COMPUTE_PGM_RSRC2:TRAP_HANDLER: 0
; COMPUTE_PGM_RSRC2:TGID_X_EN: 1
; COMPUTE_PGM_RSRC2:TGID_Y_EN: 0
; COMPUTE_PGM_RSRC2:TGID_Z_EN: 0
; COMPUTE_PGM_RSRC2:TIDIG_COMP_CNT: 0
	.section	.text._Z17flag_heads_kernelIfi15custom_flag_op1IfELj37ELj1EEvPT_Px,"axG",@progbits,_Z17flag_heads_kernelIfi15custom_flag_op1IfELj37ELj1EEvPT_Px,comdat
	.protected	_Z17flag_heads_kernelIfi15custom_flag_op1IfELj37ELj1EEvPT_Px ; -- Begin function _Z17flag_heads_kernelIfi15custom_flag_op1IfELj37ELj1EEvPT_Px
	.globl	_Z17flag_heads_kernelIfi15custom_flag_op1IfELj37ELj1EEvPT_Px
	.p2align	8
	.type	_Z17flag_heads_kernelIfi15custom_flag_op1IfELj37ELj1EEvPT_Px,@function
_Z17flag_heads_kernelIfi15custom_flag_op1IfELj37ELj1EEvPT_Px: ; @_Z17flag_heads_kernelIfi15custom_flag_op1IfELj37ELj1EEvPT_Px
; %bb.0:
	s_load_dwordx4 s[0:3], s[4:5], 0x0
	s_mul_i32 s4, s6, 37
	s_mov_b32 s5, 0
	v_lshlrev_b32_e32 v1, 2, v0
	s_lshl_b64 s[8:9], s[4:5], 2
	v_cmp_ne_u32_e32 vcc_lo, 0, v0
	s_waitcnt lgkmcnt(0)
	s_add_u32 s8, s0, s8
	s_addc_u32 s9, s1, s9
	s_bitcmp0_b32 s6, 0
	global_load_dword v2, v1, s[8:9]
	s_cbranch_scc1 .LBB15_4
; %bb.1:
	s_add_i32 s6, s4, -1
	s_mov_b32 s7, s5
	s_waitcnt vmcnt(0)
	ds_write_b32 v1, v2
	s_lshl_b64 s[6:7], s[6:7], 2
	s_add_u32 s0, s0, s6
	s_addc_u32 s1, s1, s7
	s_load_dword s0, s[0:1], 0x0
	s_waitcnt lgkmcnt(0)
	s_barrier
	buffer_gl0_inv
	v_mov_b32_e32 v3, s0
	s_and_saveexec_b32 s0, vcc_lo
; %bb.2:
	v_add_nc_u32_e32 v3, -4, v1
	ds_read_b32 v3, v3
; %bb.3:
	s_or_b32 exec_lo, exec_lo, s0
	s_waitcnt lgkmcnt(0)
	v_cmp_eq_f32_e64 s0, v3, v2
	s_branch .LBB15_8
.LBB15_4:
                                        ; implicit-def: $sgpr0
	s_cbranch_execz .LBB15_8
; %bb.5:
	s_mov_b32 s0, -1
	s_mov_b32 s1, exec_lo
	s_waitcnt vmcnt(0)
	ds_write_b32 v1, v2
	s_waitcnt lgkmcnt(0)
	s_barrier
	buffer_gl0_inv
	v_cmpx_ne_u32_e32 0, v0
	s_cbranch_execz .LBB15_7
; %bb.6:
	v_add_nc_u32_e32 v1, -4, v1
	ds_read_b32 v1, v1
	s_waitcnt lgkmcnt(0)
	v_cmp_eq_f32_e32 vcc_lo, v1, v2
	s_orn2_b32 s0, vcc_lo, exec_lo
.LBB15_7:
	s_or_b32 exec_lo, exec_lo, s1
.LBB15_8:
	s_mov_b32 s1, 0
	s_lshl_b64 s[4:5], s[4:5], 3
	s_waitcnt vmcnt(0)
	v_lshlrev_b32_e32 v2, 3, v0
	v_cndmask_b32_e64 v0, 0, 1, s0
	v_mov_b32_e32 v1, s1
	s_add_u32 s0, s2, s4
	s_addc_u32 s1, s3, s5
	global_store_dwordx2 v2, v[0:1], s[0:1]
	s_endpgm
	.section	.rodata,"a",@progbits
	.p2align	6, 0x0
	.amdhsa_kernel _Z17flag_heads_kernelIfi15custom_flag_op1IfELj37ELj1EEvPT_Px
		.amdhsa_group_segment_fixed_size 296
		.amdhsa_private_segment_fixed_size 0
		.amdhsa_kernarg_size 16
		.amdhsa_user_sgpr_count 6
		.amdhsa_user_sgpr_private_segment_buffer 1
		.amdhsa_user_sgpr_dispatch_ptr 0
		.amdhsa_user_sgpr_queue_ptr 0
		.amdhsa_user_sgpr_kernarg_segment_ptr 1
		.amdhsa_user_sgpr_dispatch_id 0
		.amdhsa_user_sgpr_flat_scratch_init 0
		.amdhsa_user_sgpr_private_segment_size 0
		.amdhsa_wavefront_size32 1
		.amdhsa_uses_dynamic_stack 0
		.amdhsa_system_sgpr_private_segment_wavefront_offset 0
		.amdhsa_system_sgpr_workgroup_id_x 1
		.amdhsa_system_sgpr_workgroup_id_y 0
		.amdhsa_system_sgpr_workgroup_id_z 0
		.amdhsa_system_sgpr_workgroup_info 0
		.amdhsa_system_vgpr_workitem_id 0
		.amdhsa_next_free_vgpr 4
		.amdhsa_next_free_sgpr 10
		.amdhsa_reserve_vcc 1
		.amdhsa_reserve_flat_scratch 0
		.amdhsa_float_round_mode_32 0
		.amdhsa_float_round_mode_16_64 0
		.amdhsa_float_denorm_mode_32 3
		.amdhsa_float_denorm_mode_16_64 3
		.amdhsa_dx10_clamp 1
		.amdhsa_ieee_mode 1
		.amdhsa_fp16_overflow 0
		.amdhsa_workgroup_processor_mode 1
		.amdhsa_memory_ordered 1
		.amdhsa_forward_progress 1
		.amdhsa_shared_vgpr_count 0
		.amdhsa_exception_fp_ieee_invalid_op 0
		.amdhsa_exception_fp_denorm_src 0
		.amdhsa_exception_fp_ieee_div_zero 0
		.amdhsa_exception_fp_ieee_overflow 0
		.amdhsa_exception_fp_ieee_underflow 0
		.amdhsa_exception_fp_ieee_inexact 0
		.amdhsa_exception_int_div_zero 0
	.end_amdhsa_kernel
	.section	.text._Z17flag_heads_kernelIfi15custom_flag_op1IfELj37ELj1EEvPT_Px,"axG",@progbits,_Z17flag_heads_kernelIfi15custom_flag_op1IfELj37ELj1EEvPT_Px,comdat
.Lfunc_end15:
	.size	_Z17flag_heads_kernelIfi15custom_flag_op1IfELj37ELj1EEvPT_Px, .Lfunc_end15-_Z17flag_heads_kernelIfi15custom_flag_op1IfELj37ELj1EEvPT_Px
                                        ; -- End function
	.set _Z17flag_heads_kernelIfi15custom_flag_op1IfELj37ELj1EEvPT_Px.num_vgpr, 4
	.set _Z17flag_heads_kernelIfi15custom_flag_op1IfELj37ELj1EEvPT_Px.num_agpr, 0
	.set _Z17flag_heads_kernelIfi15custom_flag_op1IfELj37ELj1EEvPT_Px.numbered_sgpr, 10
	.set _Z17flag_heads_kernelIfi15custom_flag_op1IfELj37ELj1EEvPT_Px.num_named_barrier, 0
	.set _Z17flag_heads_kernelIfi15custom_flag_op1IfELj37ELj1EEvPT_Px.private_seg_size, 0
	.set _Z17flag_heads_kernelIfi15custom_flag_op1IfELj37ELj1EEvPT_Px.uses_vcc, 1
	.set _Z17flag_heads_kernelIfi15custom_flag_op1IfELj37ELj1EEvPT_Px.uses_flat_scratch, 0
	.set _Z17flag_heads_kernelIfi15custom_flag_op1IfELj37ELj1EEvPT_Px.has_dyn_sized_stack, 0
	.set _Z17flag_heads_kernelIfi15custom_flag_op1IfELj37ELj1EEvPT_Px.has_recursion, 0
	.set _Z17flag_heads_kernelIfi15custom_flag_op1IfELj37ELj1EEvPT_Px.has_indirect_call, 0
	.section	.AMDGPU.csdata,"",@progbits
; Kernel info:
; codeLenInByte = 276
; TotalNumSgprs: 12
; NumVgprs: 4
; ScratchSize: 0
; MemoryBound: 0
; FloatMode: 240
; IeeeMode: 1
; LDSByteSize: 296 bytes/workgroup (compile time only)
; SGPRBlocks: 0
; VGPRBlocks: 0
; NumSGPRsForWavesPerEU: 12
; NumVGPRsForWavesPerEU: 4
; Occupancy: 16
; WaveLimiterHint : 0
; COMPUTE_PGM_RSRC2:SCRATCH_EN: 0
; COMPUTE_PGM_RSRC2:USER_SGPR: 6
; COMPUTE_PGM_RSRC2:TRAP_HANDLER: 0
; COMPUTE_PGM_RSRC2:TGID_X_EN: 1
; COMPUTE_PGM_RSRC2:TGID_Y_EN: 0
; COMPUTE_PGM_RSRC2:TGID_Z_EN: 0
; COMPUTE_PGM_RSRC2:TIDIG_COMP_CNT: 0
	.section	.text._Z17flag_heads_kernelIdjN10test_utils7greaterELj65ELj1EEvPT_Px,"axG",@progbits,_Z17flag_heads_kernelIdjN10test_utils7greaterELj65ELj1EEvPT_Px,comdat
	.protected	_Z17flag_heads_kernelIdjN10test_utils7greaterELj65ELj1EEvPT_Px ; -- Begin function _Z17flag_heads_kernelIdjN10test_utils7greaterELj65ELj1EEvPT_Px
	.globl	_Z17flag_heads_kernelIdjN10test_utils7greaterELj65ELj1EEvPT_Px
	.p2align	8
	.type	_Z17flag_heads_kernelIdjN10test_utils7greaterELj65ELj1EEvPT_Px,@function
_Z17flag_heads_kernelIdjN10test_utils7greaterELj65ELj1EEvPT_Px: ; @_Z17flag_heads_kernelIdjN10test_utils7greaterELj65ELj1EEvPT_Px
; %bb.0:
	s_load_dwordx4 s[0:3], s[4:5], 0x0
	s_mul_i32 s8, s6, 0x41
	s_mov_b32 s9, 0
	v_lshlrev_b32_e32 v5, 3, v0
	s_lshl_b64 s[4:5], s[8:9], 3
	v_cmp_ne_u32_e32 vcc_lo, 0, v0
	s_waitcnt lgkmcnt(0)
	s_add_u32 s10, s0, s4
	s_addc_u32 s11, s1, s5
	s_bitcmp0_b32 s6, 0
	global_load_dwordx2 v[1:2], v5, s[10:11]
	s_cbranch_scc1 .LBB16_4
; %bb.1:
	s_add_i32 s8, s8, -1
	s_waitcnt vmcnt(0)
	ds_write_b64 v5, v[1:2]
	s_lshl_b64 s[6:7], s[8:9], 3
	s_add_u32 s0, s0, s6
	s_addc_u32 s1, s1, s7
	s_load_dwordx2 s[0:1], s[0:1], 0x0
	s_waitcnt lgkmcnt(0)
	s_barrier
	buffer_gl0_inv
	v_mov_b32_e32 v4, s1
	v_mov_b32_e32 v3, s0
	s_and_saveexec_b32 s0, vcc_lo
; %bb.2:
	v_add_nc_u32_e32 v3, -8, v5
	ds_read_b64 v[3:4], v3
; %bb.3:
	s_or_b32 exec_lo, exec_lo, s0
	s_waitcnt lgkmcnt(0)
	v_cmp_gt_f64_e64 s0, v[3:4], v[1:2]
	s_branch .LBB16_8
.LBB16_4:
                                        ; implicit-def: $sgpr0
	s_cbranch_execz .LBB16_8
; %bb.5:
	s_mov_b32 s0, -1
	s_mov_b32 s1, exec_lo
	s_waitcnt vmcnt(0)
	ds_write_b64 v5, v[1:2]
	s_waitcnt lgkmcnt(0)
	s_barrier
	buffer_gl0_inv
	v_cmpx_ne_u32_e32 0, v0
	s_cbranch_execz .LBB16_7
; %bb.6:
	v_add_nc_u32_e32 v0, -8, v5
	ds_read_b64 v[3:4], v0
	s_waitcnt lgkmcnt(0)
	v_cmp_gt_f64_e32 vcc_lo, v[3:4], v[1:2]
	s_orn2_b32 s0, vcc_lo, exec_lo
.LBB16_7:
	s_or_b32 exec_lo, exec_lo, s1
.LBB16_8:
	s_mov_b32 s1, 0
	v_cndmask_b32_e64 v0, 0, 1, s0
	s_waitcnt vmcnt(0)
	v_mov_b32_e32 v1, s1
	s_add_u32 s0, s2, s4
	s_addc_u32 s1, s3, s5
	global_store_dwordx2 v5, v[0:1], s[0:1]
	s_endpgm
	.section	.rodata,"a",@progbits
	.p2align	6, 0x0
	.amdhsa_kernel _Z17flag_heads_kernelIdjN10test_utils7greaterELj65ELj1EEvPT_Px
		.amdhsa_group_segment_fixed_size 1040
		.amdhsa_private_segment_fixed_size 0
		.amdhsa_kernarg_size 16
		.amdhsa_user_sgpr_count 6
		.amdhsa_user_sgpr_private_segment_buffer 1
		.amdhsa_user_sgpr_dispatch_ptr 0
		.amdhsa_user_sgpr_queue_ptr 0
		.amdhsa_user_sgpr_kernarg_segment_ptr 1
		.amdhsa_user_sgpr_dispatch_id 0
		.amdhsa_user_sgpr_flat_scratch_init 0
		.amdhsa_user_sgpr_private_segment_size 0
		.amdhsa_wavefront_size32 1
		.amdhsa_uses_dynamic_stack 0
		.amdhsa_system_sgpr_private_segment_wavefront_offset 0
		.amdhsa_system_sgpr_workgroup_id_x 1
		.amdhsa_system_sgpr_workgroup_id_y 0
		.amdhsa_system_sgpr_workgroup_id_z 0
		.amdhsa_system_sgpr_workgroup_info 0
		.amdhsa_system_vgpr_workitem_id 0
		.amdhsa_next_free_vgpr 6
		.amdhsa_next_free_sgpr 12
		.amdhsa_reserve_vcc 1
		.amdhsa_reserve_flat_scratch 0
		.amdhsa_float_round_mode_32 0
		.amdhsa_float_round_mode_16_64 0
		.amdhsa_float_denorm_mode_32 3
		.amdhsa_float_denorm_mode_16_64 3
		.amdhsa_dx10_clamp 1
		.amdhsa_ieee_mode 1
		.amdhsa_fp16_overflow 0
		.amdhsa_workgroup_processor_mode 1
		.amdhsa_memory_ordered 1
		.amdhsa_forward_progress 1
		.amdhsa_shared_vgpr_count 0
		.amdhsa_exception_fp_ieee_invalid_op 0
		.amdhsa_exception_fp_denorm_src 0
		.amdhsa_exception_fp_ieee_div_zero 0
		.amdhsa_exception_fp_ieee_overflow 0
		.amdhsa_exception_fp_ieee_underflow 0
		.amdhsa_exception_fp_ieee_inexact 0
		.amdhsa_exception_int_div_zero 0
	.end_amdhsa_kernel
	.section	.text._Z17flag_heads_kernelIdjN10test_utils7greaterELj65ELj1EEvPT_Px,"axG",@progbits,_Z17flag_heads_kernelIdjN10test_utils7greaterELj65ELj1EEvPT_Px,comdat
.Lfunc_end16:
	.size	_Z17flag_heads_kernelIdjN10test_utils7greaterELj65ELj1EEvPT_Px, .Lfunc_end16-_Z17flag_heads_kernelIdjN10test_utils7greaterELj65ELj1EEvPT_Px
                                        ; -- End function
	.set _Z17flag_heads_kernelIdjN10test_utils7greaterELj65ELj1EEvPT_Px.num_vgpr, 6
	.set _Z17flag_heads_kernelIdjN10test_utils7greaterELj65ELj1EEvPT_Px.num_agpr, 0
	.set _Z17flag_heads_kernelIdjN10test_utils7greaterELj65ELj1EEvPT_Px.numbered_sgpr, 12
	.set _Z17flag_heads_kernelIdjN10test_utils7greaterELj65ELj1EEvPT_Px.num_named_barrier, 0
	.set _Z17flag_heads_kernelIdjN10test_utils7greaterELj65ELj1EEvPT_Px.private_seg_size, 0
	.set _Z17flag_heads_kernelIdjN10test_utils7greaterELj65ELj1EEvPT_Px.uses_vcc, 1
	.set _Z17flag_heads_kernelIdjN10test_utils7greaterELj65ELj1EEvPT_Px.uses_flat_scratch, 0
	.set _Z17flag_heads_kernelIdjN10test_utils7greaterELj65ELj1EEvPT_Px.has_dyn_sized_stack, 0
	.set _Z17flag_heads_kernelIdjN10test_utils7greaterELj65ELj1EEvPT_Px.has_recursion, 0
	.set _Z17flag_heads_kernelIdjN10test_utils7greaterELj65ELj1EEvPT_Px.has_indirect_call, 0
	.section	.AMDGPU.csdata,"",@progbits
; Kernel info:
; codeLenInByte = 272
; TotalNumSgprs: 14
; NumVgprs: 6
; ScratchSize: 0
; MemoryBound: 0
; FloatMode: 240
; IeeeMode: 1
; LDSByteSize: 1040 bytes/workgroup (compile time only)
; SGPRBlocks: 0
; VGPRBlocks: 0
; NumSGPRsForWavesPerEU: 14
; NumVGPRsForWavesPerEU: 6
; Occupancy: 16
; WaveLimiterHint : 0
; COMPUTE_PGM_RSRC2:SCRATCH_EN: 0
; COMPUTE_PGM_RSRC2:USER_SGPR: 6
; COMPUTE_PGM_RSRC2:TRAP_HANDLER: 0
; COMPUTE_PGM_RSRC2:TGID_X_EN: 1
; COMPUTE_PGM_RSRC2:TGID_Y_EN: 0
; COMPUTE_PGM_RSRC2:TGID_Z_EN: 0
; COMPUTE_PGM_RSRC2:TIDIG_COMP_CNT: 0
	.section	.text._Z17flag_heads_kernelIib15custom_flag_op1IiELj256ELj1EEvPT_Px,"axG",@progbits,_Z17flag_heads_kernelIib15custom_flag_op1IiELj256ELj1EEvPT_Px,comdat
	.protected	_Z17flag_heads_kernelIib15custom_flag_op1IiELj256ELj1EEvPT_Px ; -- Begin function _Z17flag_heads_kernelIib15custom_flag_op1IiELj256ELj1EEvPT_Px
	.globl	_Z17flag_heads_kernelIib15custom_flag_op1IiELj256ELj1EEvPT_Px
	.p2align	8
	.type	_Z17flag_heads_kernelIib15custom_flag_op1IiELj256ELj1EEvPT_Px,@function
_Z17flag_heads_kernelIib15custom_flag_op1IiELj256ELj1EEvPT_Px: ; @_Z17flag_heads_kernelIib15custom_flag_op1IiELj256ELj1EEvPT_Px
; %bb.0:
	s_load_dwordx4 s[0:3], s[4:5], 0x0
	s_lshl_b32 s4, s6, 8
	s_mov_b32 s5, 0
	v_lshlrev_b32_e32 v1, 2, v0
	s_lshl_b64 s[8:9], s[4:5], 2
	v_cmp_ne_u32_e32 vcc_lo, 0, v0
	s_waitcnt lgkmcnt(0)
	s_add_u32 s8, s0, s8
	s_addc_u32 s9, s1, s9
	s_bitcmp0_b32 s6, 0
	global_load_dword v2, v1, s[8:9]
	s_cbranch_scc1 .LBB17_4
; %bb.1:
	s_add_i32 s6, s4, -1
	s_mov_b32 s7, s5
	s_waitcnt vmcnt(0)
	ds_write_b32 v1, v2
	s_lshl_b64 s[6:7], s[6:7], 2
	s_add_u32 s0, s0, s6
	s_addc_u32 s1, s1, s7
	s_load_dword s0, s[0:1], 0x0
	s_waitcnt lgkmcnt(0)
	s_barrier
	buffer_gl0_inv
	v_mov_b32_e32 v3, s0
	s_and_saveexec_b32 s0, vcc_lo
; %bb.2:
	v_add_nc_u32_e32 v3, -4, v1
	ds_read_b32 v3, v3
; %bb.3:
	s_or_b32 exec_lo, exec_lo, s0
	s_waitcnt lgkmcnt(0)
	v_cmp_eq_u32_e64 s0, v3, v2
	s_branch .LBB17_8
.LBB17_4:
                                        ; implicit-def: $sgpr0
	s_cbranch_execz .LBB17_8
; %bb.5:
	s_mov_b32 s0, -1
	s_mov_b32 s1, exec_lo
	s_waitcnt vmcnt(0)
	ds_write_b32 v1, v2
	s_waitcnt lgkmcnt(0)
	s_barrier
	buffer_gl0_inv
	v_cmpx_ne_u32_e32 0, v0
	s_cbranch_execz .LBB17_7
; %bb.6:
	v_add_nc_u32_e32 v1, -4, v1
	ds_read_b32 v1, v1
	s_waitcnt lgkmcnt(0)
	v_cmp_eq_u32_e32 vcc_lo, v1, v2
	s_orn2_b32 s0, vcc_lo, exec_lo
.LBB17_7:
	s_or_b32 exec_lo, exec_lo, s1
.LBB17_8:
	s_mov_b32 s1, 0
	s_lshl_b64 s[4:5], s[4:5], 3
	s_waitcnt vmcnt(0)
	v_lshlrev_b32_e32 v2, 3, v0
	v_cndmask_b32_e64 v0, 0, 1, s0
	v_mov_b32_e32 v1, s1
	s_add_u32 s0, s2, s4
	s_addc_u32 s1, s3, s5
	global_store_dwordx2 v2, v[0:1], s[0:1]
	s_endpgm
	.section	.rodata,"a",@progbits
	.p2align	6, 0x0
	.amdhsa_kernel _Z17flag_heads_kernelIib15custom_flag_op1IiELj256ELj1EEvPT_Px
		.amdhsa_group_segment_fixed_size 2048
		.amdhsa_private_segment_fixed_size 0
		.amdhsa_kernarg_size 16
		.amdhsa_user_sgpr_count 6
		.amdhsa_user_sgpr_private_segment_buffer 1
		.amdhsa_user_sgpr_dispatch_ptr 0
		.amdhsa_user_sgpr_queue_ptr 0
		.amdhsa_user_sgpr_kernarg_segment_ptr 1
		.amdhsa_user_sgpr_dispatch_id 0
		.amdhsa_user_sgpr_flat_scratch_init 0
		.amdhsa_user_sgpr_private_segment_size 0
		.amdhsa_wavefront_size32 1
		.amdhsa_uses_dynamic_stack 0
		.amdhsa_system_sgpr_private_segment_wavefront_offset 0
		.amdhsa_system_sgpr_workgroup_id_x 1
		.amdhsa_system_sgpr_workgroup_id_y 0
		.amdhsa_system_sgpr_workgroup_id_z 0
		.amdhsa_system_sgpr_workgroup_info 0
		.amdhsa_system_vgpr_workitem_id 0
		.amdhsa_next_free_vgpr 4
		.amdhsa_next_free_sgpr 10
		.amdhsa_reserve_vcc 1
		.amdhsa_reserve_flat_scratch 0
		.amdhsa_float_round_mode_32 0
		.amdhsa_float_round_mode_16_64 0
		.amdhsa_float_denorm_mode_32 3
		.amdhsa_float_denorm_mode_16_64 3
		.amdhsa_dx10_clamp 1
		.amdhsa_ieee_mode 1
		.amdhsa_fp16_overflow 0
		.amdhsa_workgroup_processor_mode 1
		.amdhsa_memory_ordered 1
		.amdhsa_forward_progress 1
		.amdhsa_shared_vgpr_count 0
		.amdhsa_exception_fp_ieee_invalid_op 0
		.amdhsa_exception_fp_denorm_src 0
		.amdhsa_exception_fp_ieee_div_zero 0
		.amdhsa_exception_fp_ieee_overflow 0
		.amdhsa_exception_fp_ieee_underflow 0
		.amdhsa_exception_fp_ieee_inexact 0
		.amdhsa_exception_int_div_zero 0
	.end_amdhsa_kernel
	.section	.text._Z17flag_heads_kernelIib15custom_flag_op1IiELj256ELj1EEvPT_Px,"axG",@progbits,_Z17flag_heads_kernelIib15custom_flag_op1IiELj256ELj1EEvPT_Px,comdat
.Lfunc_end17:
	.size	_Z17flag_heads_kernelIib15custom_flag_op1IiELj256ELj1EEvPT_Px, .Lfunc_end17-_Z17flag_heads_kernelIib15custom_flag_op1IiELj256ELj1EEvPT_Px
                                        ; -- End function
	.set _Z17flag_heads_kernelIib15custom_flag_op1IiELj256ELj1EEvPT_Px.num_vgpr, 4
	.set _Z17flag_heads_kernelIib15custom_flag_op1IiELj256ELj1EEvPT_Px.num_agpr, 0
	.set _Z17flag_heads_kernelIib15custom_flag_op1IiELj256ELj1EEvPT_Px.numbered_sgpr, 10
	.set _Z17flag_heads_kernelIib15custom_flag_op1IiELj256ELj1EEvPT_Px.num_named_barrier, 0
	.set _Z17flag_heads_kernelIib15custom_flag_op1IiELj256ELj1EEvPT_Px.private_seg_size, 0
	.set _Z17flag_heads_kernelIib15custom_flag_op1IiELj256ELj1EEvPT_Px.uses_vcc, 1
	.set _Z17flag_heads_kernelIib15custom_flag_op1IiELj256ELj1EEvPT_Px.uses_flat_scratch, 0
	.set _Z17flag_heads_kernelIib15custom_flag_op1IiELj256ELj1EEvPT_Px.has_dyn_sized_stack, 0
	.set _Z17flag_heads_kernelIib15custom_flag_op1IiELj256ELj1EEvPT_Px.has_recursion, 0
	.set _Z17flag_heads_kernelIib15custom_flag_op1IiELj256ELj1EEvPT_Px.has_indirect_call, 0
	.section	.AMDGPU.csdata,"",@progbits
; Kernel info:
; codeLenInByte = 276
; TotalNumSgprs: 12
; NumVgprs: 4
; ScratchSize: 0
; MemoryBound: 0
; FloatMode: 240
; IeeeMode: 1
; LDSByteSize: 2048 bytes/workgroup (compile time only)
; SGPRBlocks: 0
; VGPRBlocks: 0
; NumSGPRsForWavesPerEU: 12
; NumVGPRsForWavesPerEU: 4
; Occupancy: 16
; WaveLimiterHint : 0
; COMPUTE_PGM_RSRC2:SCRATCH_EN: 0
; COMPUTE_PGM_RSRC2:USER_SGPR: 6
; COMPUTE_PGM_RSRC2:TRAP_HANDLER: 0
; COMPUTE_PGM_RSRC2:TGID_X_EN: 1
; COMPUTE_PGM_RSRC2:TGID_Y_EN: 0
; COMPUTE_PGM_RSRC2:TGID_Z_EN: 0
; COMPUTE_PGM_RSRC2:TIDIG_COMP_CNT: 0
	.section	.text._Z17flag_heads_kernelIccN10test_utils10less_equalELj1024ELj1EEvPT_Px,"axG",@progbits,_Z17flag_heads_kernelIccN10test_utils10less_equalELj1024ELj1EEvPT_Px,comdat
	.protected	_Z17flag_heads_kernelIccN10test_utils10less_equalELj1024ELj1EEvPT_Px ; -- Begin function _Z17flag_heads_kernelIccN10test_utils10less_equalELj1024ELj1EEvPT_Px
	.globl	_Z17flag_heads_kernelIccN10test_utils10less_equalELj1024ELj1EEvPT_Px
	.p2align	8
	.type	_Z17flag_heads_kernelIccN10test_utils10less_equalELj1024ELj1EEvPT_Px,@function
_Z17flag_heads_kernelIccN10test_utils10less_equalELj1024ELj1EEvPT_Px: ; @_Z17flag_heads_kernelIccN10test_utils10less_equalELj1024ELj1EEvPT_Px
; %bb.0:
	s_load_dwordx4 s[0:3], s[4:5], 0x0
	s_lshl_b32 s4, s6, 10
	s_mov_b32 s5, 0
	v_cmp_ne_u32_e32 vcc_lo, 0, v0
	s_waitcnt lgkmcnt(0)
	s_add_u32 s8, s0, s4
	s_addc_u32 s9, s1, 0
	s_bitcmp0_b32 s6, 0
	global_load_sbyte v1, v0, s[8:9]
	s_cbranch_scc1 .LBB18_4
; %bb.1:
	s_add_i32 s6, s4, -1
	s_waitcnt vmcnt(0)
	ds_write_b8 v0, v1
	v_mov_b32_e32 v2, s6
	global_load_ubyte v2, v2, s[0:1]
	s_waitcnt vmcnt(0) lgkmcnt(0)
	s_barrier
	buffer_gl0_inv
	s_and_saveexec_b32 s0, vcc_lo
; %bb.2:
	v_add_nc_u32_e32 v2, -1, v0
	ds_read_u8 v2, v2
; %bb.3:
	s_or_b32 exec_lo, exec_lo, s0
	s_waitcnt lgkmcnt(0)
	v_cmp_le_i16_sdwa s0, sext(v2), v1 src0_sel:BYTE_0 src1_sel:DWORD
	s_branch .LBB18_8
.LBB18_4:
                                        ; implicit-def: $sgpr0
	s_cbranch_execz .LBB18_8
; %bb.5:
	s_mov_b32 s0, -1
	s_mov_b32 s1, exec_lo
	s_waitcnt vmcnt(0)
	ds_write_b8 v0, v1
	s_waitcnt lgkmcnt(0)
	s_barrier
	buffer_gl0_inv
	v_cmpx_ne_u32_e32 0, v0
	s_cbranch_execz .LBB18_7
; %bb.6:
	v_add_nc_u32_e32 v2, -1, v0
	ds_read_i8 v2, v2
	s_waitcnt lgkmcnt(0)
	v_cmp_le_i16_e32 vcc_lo, v2, v1
	s_orn2_b32 s0, vcc_lo, exec_lo
.LBB18_7:
	s_or_b32 exec_lo, exec_lo, s1
.LBB18_8:
	s_mov_b32 s1, 0
	s_lshl_b64 s[4:5], s[4:5], 3
	v_lshlrev_b32_e32 v2, 3, v0
	v_cndmask_b32_e64 v0, 0, 1, s0
	s_waitcnt vmcnt(0)
	v_mov_b32_e32 v1, s1
	s_add_u32 s0, s2, s4
	s_addc_u32 s1, s3, s5
	global_store_dwordx2 v2, v[0:1], s[0:1]
	s_endpgm
	.section	.rodata,"a",@progbits
	.p2align	6, 0x0
	.amdhsa_kernel _Z17flag_heads_kernelIccN10test_utils10less_equalELj1024ELj1EEvPT_Px
		.amdhsa_group_segment_fixed_size 2048
		.amdhsa_private_segment_fixed_size 0
		.amdhsa_kernarg_size 16
		.amdhsa_user_sgpr_count 6
		.amdhsa_user_sgpr_private_segment_buffer 1
		.amdhsa_user_sgpr_dispatch_ptr 0
		.amdhsa_user_sgpr_queue_ptr 0
		.amdhsa_user_sgpr_kernarg_segment_ptr 1
		.amdhsa_user_sgpr_dispatch_id 0
		.amdhsa_user_sgpr_flat_scratch_init 0
		.amdhsa_user_sgpr_private_segment_size 0
		.amdhsa_wavefront_size32 1
		.amdhsa_uses_dynamic_stack 0
		.amdhsa_system_sgpr_private_segment_wavefront_offset 0
		.amdhsa_system_sgpr_workgroup_id_x 1
		.amdhsa_system_sgpr_workgroup_id_y 0
		.amdhsa_system_sgpr_workgroup_id_z 0
		.amdhsa_system_sgpr_workgroup_info 0
		.amdhsa_system_vgpr_workitem_id 0
		.amdhsa_next_free_vgpr 3
		.amdhsa_next_free_sgpr 10
		.amdhsa_reserve_vcc 1
		.amdhsa_reserve_flat_scratch 0
		.amdhsa_float_round_mode_32 0
		.amdhsa_float_round_mode_16_64 0
		.amdhsa_float_denorm_mode_32 3
		.amdhsa_float_denorm_mode_16_64 3
		.amdhsa_dx10_clamp 1
		.amdhsa_ieee_mode 1
		.amdhsa_fp16_overflow 0
		.amdhsa_workgroup_processor_mode 1
		.amdhsa_memory_ordered 1
		.amdhsa_forward_progress 1
		.amdhsa_shared_vgpr_count 0
		.amdhsa_exception_fp_ieee_invalid_op 0
		.amdhsa_exception_fp_denorm_src 0
		.amdhsa_exception_fp_ieee_div_zero 0
		.amdhsa_exception_fp_ieee_overflow 0
		.amdhsa_exception_fp_ieee_underflow 0
		.amdhsa_exception_fp_ieee_inexact 0
		.amdhsa_exception_int_div_zero 0
	.end_amdhsa_kernel
	.section	.text._Z17flag_heads_kernelIccN10test_utils10less_equalELj1024ELj1EEvPT_Px,"axG",@progbits,_Z17flag_heads_kernelIccN10test_utils10less_equalELj1024ELj1EEvPT_Px,comdat
.Lfunc_end18:
	.size	_Z17flag_heads_kernelIccN10test_utils10less_equalELj1024ELj1EEvPT_Px, .Lfunc_end18-_Z17flag_heads_kernelIccN10test_utils10less_equalELj1024ELj1EEvPT_Px
                                        ; -- End function
	.set _Z17flag_heads_kernelIccN10test_utils10less_equalELj1024ELj1EEvPT_Px.num_vgpr, 3
	.set _Z17flag_heads_kernelIccN10test_utils10less_equalELj1024ELj1EEvPT_Px.num_agpr, 0
	.set _Z17flag_heads_kernelIccN10test_utils10less_equalELj1024ELj1EEvPT_Px.numbered_sgpr, 10
	.set _Z17flag_heads_kernelIccN10test_utils10less_equalELj1024ELj1EEvPT_Px.num_named_barrier, 0
	.set _Z17flag_heads_kernelIccN10test_utils10less_equalELj1024ELj1EEvPT_Px.private_seg_size, 0
	.set _Z17flag_heads_kernelIccN10test_utils10less_equalELj1024ELj1EEvPT_Px.uses_vcc, 1
	.set _Z17flag_heads_kernelIccN10test_utils10less_equalELj1024ELj1EEvPT_Px.uses_flat_scratch, 0
	.set _Z17flag_heads_kernelIccN10test_utils10less_equalELj1024ELj1EEvPT_Px.has_dyn_sized_stack, 0
	.set _Z17flag_heads_kernelIccN10test_utils10less_equalELj1024ELj1EEvPT_Px.has_recursion, 0
	.set _Z17flag_heads_kernelIccN10test_utils10less_equalELj1024ELj1EEvPT_Px.has_indirect_call, 0
	.section	.AMDGPU.csdata,"",@progbits
; Kernel info:
; codeLenInByte = 252
; TotalNumSgprs: 12
; NumVgprs: 3
; ScratchSize: 0
; MemoryBound: 0
; FloatMode: 240
; IeeeMode: 1
; LDSByteSize: 2048 bytes/workgroup (compile time only)
; SGPRBlocks: 0
; VGPRBlocks: 0
; NumSGPRsForWavesPerEU: 12
; NumVGPRsForWavesPerEU: 3
; Occupancy: 16
; WaveLimiterHint : 0
; COMPUTE_PGM_RSRC2:SCRATCH_EN: 0
; COMPUTE_PGM_RSRC2:USER_SGPR: 6
; COMPUTE_PGM_RSRC2:TRAP_HANDLER: 0
; COMPUTE_PGM_RSRC2:TGID_X_EN: 1
; COMPUTE_PGM_RSRC2:TGID_Y_EN: 0
; COMPUTE_PGM_RSRC2:TGID_Z_EN: 0
; COMPUTE_PGM_RSRC2:TIDIG_COMP_CNT: 0
	.section	.text._Z17flag_heads_kernelI12hip_bfloat16iN10test_utils4lessELj256ELj1EEvPT_Px,"axG",@progbits,_Z17flag_heads_kernelI12hip_bfloat16iN10test_utils4lessELj256ELj1EEvPT_Px,comdat
	.protected	_Z17flag_heads_kernelI12hip_bfloat16iN10test_utils4lessELj256ELj1EEvPT_Px ; -- Begin function _Z17flag_heads_kernelI12hip_bfloat16iN10test_utils4lessELj256ELj1EEvPT_Px
	.globl	_Z17flag_heads_kernelI12hip_bfloat16iN10test_utils4lessELj256ELj1EEvPT_Px
	.p2align	8
	.type	_Z17flag_heads_kernelI12hip_bfloat16iN10test_utils4lessELj256ELj1EEvPT_Px,@function
_Z17flag_heads_kernelI12hip_bfloat16iN10test_utils4lessELj256ELj1EEvPT_Px: ; @_Z17flag_heads_kernelI12hip_bfloat16iN10test_utils4lessELj256ELj1EEvPT_Px
; %bb.0:
	s_load_dwordx4 s[0:3], s[4:5], 0x0
	s_lshl_b32 s4, s6, 8
	s_mov_b32 s5, 0
	v_lshlrev_b32_e32 v2, 1, v0
	s_lshl_b64 s[8:9], s[4:5], 1
	v_mov_b32_e32 v3, 0
	v_cmp_ne_u32_e32 vcc_lo, 0, v0
	s_waitcnt lgkmcnt(0)
	s_add_u32 s8, s0, s8
	s_addc_u32 s9, s1, s9
	s_bitcmp0_b32 s6, 0
	global_load_ushort v1, v2, s[8:9]
	s_cbranch_scc1 .LBB19_4
; %bb.1:
	s_add_i32 s6, s4, -1
	s_mov_b32 s7, s5
	s_waitcnt vmcnt(0)
	ds_write_b16 v2, v1
	s_lshl_b64 s[6:7], s[6:7], 1
	s_add_u32 s0, s0, s6
	s_addc_u32 s1, s1, s7
	global_load_ushort v3, v3, s[0:1]
	s_waitcnt vmcnt(0) lgkmcnt(0)
	s_barrier
	buffer_gl0_inv
	s_and_saveexec_b32 s0, vcc_lo
; %bb.2:
	v_add_nc_u32_e32 v3, -2, v2
	ds_read_u16 v3, v3
; %bb.3:
	s_or_b32 exec_lo, exec_lo, s0
	v_lshlrev_b32_e32 v4, 16, v1
	s_waitcnt lgkmcnt(0)
	v_lshlrev_b32_e32 v3, 16, v3
	v_cmp_lt_f32_e64 s0, v3, v4
	s_branch .LBB19_8
.LBB19_4:
                                        ; implicit-def: $sgpr0
	s_cbranch_execz .LBB19_8
; %bb.5:
	s_mov_b32 s0, -1
	s_mov_b32 s1, exec_lo
	s_waitcnt vmcnt(0)
	ds_write_b16 v2, v1
	s_waitcnt lgkmcnt(0)
	s_barrier
	buffer_gl0_inv
	v_cmpx_ne_u32_e32 0, v0
	s_cbranch_execz .LBB19_7
; %bb.6:
	v_add_nc_u32_e32 v2, -2, v2
	v_lshlrev_b32_e32 v1, 16, v1
	ds_read_u16 v2, v2
	s_waitcnt lgkmcnt(0)
	v_lshlrev_b32_e32 v2, 16, v2
	v_cmp_lt_f32_e32 vcc_lo, v2, v1
	s_orn2_b32 s0, vcc_lo, exec_lo
.LBB19_7:
	s_or_b32 exec_lo, exec_lo, s1
.LBB19_8:
	s_mov_b32 s1, 0
	s_lshl_b64 s[4:5], s[4:5], 3
	v_lshlrev_b32_e32 v2, 3, v0
	v_cndmask_b32_e64 v0, 0, 1, s0
	s_waitcnt vmcnt(0)
	v_mov_b32_e32 v1, s1
	s_add_u32 s0, s2, s4
	s_addc_u32 s1, s3, s5
	global_store_dwordx2 v2, v[0:1], s[0:1]
	s_endpgm
	.section	.rodata,"a",@progbits
	.p2align	6, 0x0
	.amdhsa_kernel _Z17flag_heads_kernelI12hip_bfloat16iN10test_utils4lessELj256ELj1EEvPT_Px
		.amdhsa_group_segment_fixed_size 1024
		.amdhsa_private_segment_fixed_size 0
		.amdhsa_kernarg_size 16
		.amdhsa_user_sgpr_count 6
		.amdhsa_user_sgpr_private_segment_buffer 1
		.amdhsa_user_sgpr_dispatch_ptr 0
		.amdhsa_user_sgpr_queue_ptr 0
		.amdhsa_user_sgpr_kernarg_segment_ptr 1
		.amdhsa_user_sgpr_dispatch_id 0
		.amdhsa_user_sgpr_flat_scratch_init 0
		.amdhsa_user_sgpr_private_segment_size 0
		.amdhsa_wavefront_size32 1
		.amdhsa_uses_dynamic_stack 0
		.amdhsa_system_sgpr_private_segment_wavefront_offset 0
		.amdhsa_system_sgpr_workgroup_id_x 1
		.amdhsa_system_sgpr_workgroup_id_y 0
		.amdhsa_system_sgpr_workgroup_id_z 0
		.amdhsa_system_sgpr_workgroup_info 0
		.amdhsa_system_vgpr_workitem_id 0
		.amdhsa_next_free_vgpr 5
		.amdhsa_next_free_sgpr 10
		.amdhsa_reserve_vcc 1
		.amdhsa_reserve_flat_scratch 0
		.amdhsa_float_round_mode_32 0
		.amdhsa_float_round_mode_16_64 0
		.amdhsa_float_denorm_mode_32 3
		.amdhsa_float_denorm_mode_16_64 3
		.amdhsa_dx10_clamp 1
		.amdhsa_ieee_mode 1
		.amdhsa_fp16_overflow 0
		.amdhsa_workgroup_processor_mode 1
		.amdhsa_memory_ordered 1
		.amdhsa_forward_progress 1
		.amdhsa_shared_vgpr_count 0
		.amdhsa_exception_fp_ieee_invalid_op 0
		.amdhsa_exception_fp_denorm_src 0
		.amdhsa_exception_fp_ieee_div_zero 0
		.amdhsa_exception_fp_ieee_overflow 0
		.amdhsa_exception_fp_ieee_underflow 0
		.amdhsa_exception_fp_ieee_inexact 0
		.amdhsa_exception_int_div_zero 0
	.end_amdhsa_kernel
	.section	.text._Z17flag_heads_kernelI12hip_bfloat16iN10test_utils4lessELj256ELj1EEvPT_Px,"axG",@progbits,_Z17flag_heads_kernelI12hip_bfloat16iN10test_utils4lessELj256ELj1EEvPT_Px,comdat
.Lfunc_end19:
	.size	_Z17flag_heads_kernelI12hip_bfloat16iN10test_utils4lessELj256ELj1EEvPT_Px, .Lfunc_end19-_Z17flag_heads_kernelI12hip_bfloat16iN10test_utils4lessELj256ELj1EEvPT_Px
                                        ; -- End function
	.set _Z17flag_heads_kernelI12hip_bfloat16iN10test_utils4lessELj256ELj1EEvPT_Px.num_vgpr, 5
	.set _Z17flag_heads_kernelI12hip_bfloat16iN10test_utils4lessELj256ELj1EEvPT_Px.num_agpr, 0
	.set _Z17flag_heads_kernelI12hip_bfloat16iN10test_utils4lessELj256ELj1EEvPT_Px.numbered_sgpr, 10
	.set _Z17flag_heads_kernelI12hip_bfloat16iN10test_utils4lessELj256ELj1EEvPT_Px.num_named_barrier, 0
	.set _Z17flag_heads_kernelI12hip_bfloat16iN10test_utils4lessELj256ELj1EEvPT_Px.private_seg_size, 0
	.set _Z17flag_heads_kernelI12hip_bfloat16iN10test_utils4lessELj256ELj1EEvPT_Px.uses_vcc, 1
	.set _Z17flag_heads_kernelI12hip_bfloat16iN10test_utils4lessELj256ELj1EEvPT_Px.uses_flat_scratch, 0
	.set _Z17flag_heads_kernelI12hip_bfloat16iN10test_utils4lessELj256ELj1EEvPT_Px.has_dyn_sized_stack, 0
	.set _Z17flag_heads_kernelI12hip_bfloat16iN10test_utils4lessELj256ELj1EEvPT_Px.has_recursion, 0
	.set _Z17flag_heads_kernelI12hip_bfloat16iN10test_utils4lessELj256ELj1EEvPT_Px.has_indirect_call, 0
	.section	.AMDGPU.csdata,"",@progbits
; Kernel info:
; codeLenInByte = 292
; TotalNumSgprs: 12
; NumVgprs: 5
; ScratchSize: 0
; MemoryBound: 0
; FloatMode: 240
; IeeeMode: 1
; LDSByteSize: 1024 bytes/workgroup (compile time only)
; SGPRBlocks: 0
; VGPRBlocks: 0
; NumSGPRsForWavesPerEU: 12
; NumVGPRsForWavesPerEU: 5
; Occupancy: 16
; WaveLimiterHint : 0
; COMPUTE_PGM_RSRC2:SCRATCH_EN: 0
; COMPUTE_PGM_RSRC2:USER_SGPR: 6
; COMPUTE_PGM_RSRC2:TRAP_HANDLER: 0
; COMPUTE_PGM_RSRC2:TGID_X_EN: 1
; COMPUTE_PGM_RSRC2:TGID_Y_EN: 0
; COMPUTE_PGM_RSRC2:TGID_Z_EN: 0
; COMPUTE_PGM_RSRC2:TIDIG_COMP_CNT: 0
	.section	.text._Z17flag_heads_kernelI6__halfiN10test_utils4lessELj256ELj1EEvPT_Px,"axG",@progbits,_Z17flag_heads_kernelI6__halfiN10test_utils4lessELj256ELj1EEvPT_Px,comdat
	.protected	_Z17flag_heads_kernelI6__halfiN10test_utils4lessELj256ELj1EEvPT_Px ; -- Begin function _Z17flag_heads_kernelI6__halfiN10test_utils4lessELj256ELj1EEvPT_Px
	.globl	_Z17flag_heads_kernelI6__halfiN10test_utils4lessELj256ELj1EEvPT_Px
	.p2align	8
	.type	_Z17flag_heads_kernelI6__halfiN10test_utils4lessELj256ELj1EEvPT_Px,@function
_Z17flag_heads_kernelI6__halfiN10test_utils4lessELj256ELj1EEvPT_Px: ; @_Z17flag_heads_kernelI6__halfiN10test_utils4lessELj256ELj1EEvPT_Px
; %bb.0:
	s_load_dwordx4 s[0:3], s[4:5], 0x0
	s_lshl_b32 s4, s6, 8
	s_mov_b32 s5, 0
	v_lshlrev_b32_e32 v1, 1, v0
	s_lshl_b64 s[8:9], s[4:5], 1
	v_mov_b32_e32 v3, 0
	v_cmp_ne_u32_e32 vcc_lo, 0, v0
	s_waitcnt lgkmcnt(0)
	s_add_u32 s8, s0, s8
	s_addc_u32 s9, s1, s9
	s_bitcmp0_b32 s6, 0
	global_load_ushort v2, v1, s[8:9]
	s_cbranch_scc1 .LBB20_4
; %bb.1:
	s_add_i32 s6, s4, -1
	s_mov_b32 s7, s5
	s_waitcnt vmcnt(0)
	ds_write_b16 v1, v2
	s_lshl_b64 s[6:7], s[6:7], 1
	s_add_u32 s0, s0, s6
	s_addc_u32 s1, s1, s7
	global_load_ushort v3, v3, s[0:1]
	s_waitcnt vmcnt(0) lgkmcnt(0)
	s_barrier
	buffer_gl0_inv
	s_and_saveexec_b32 s0, vcc_lo
; %bb.2:
	v_add_nc_u32_e32 v3, -2, v1
	ds_read_u16 v3, v3
; %bb.3:
	s_or_b32 exec_lo, exec_lo, s0
	s_waitcnt lgkmcnt(0)
	v_cmp_lt_f16_e64 s0, v3, v2
	s_branch .LBB20_8
.LBB20_4:
                                        ; implicit-def: $sgpr0
	s_cbranch_execz .LBB20_8
; %bb.5:
	s_mov_b32 s0, -1
	s_mov_b32 s1, exec_lo
	s_waitcnt vmcnt(0)
	ds_write_b16 v1, v2
	s_waitcnt lgkmcnt(0)
	s_barrier
	buffer_gl0_inv
	v_cmpx_ne_u32_e32 0, v0
	s_cbranch_execz .LBB20_7
; %bb.6:
	v_add_nc_u32_e32 v1, -2, v1
	ds_read_u16 v1, v1
	s_waitcnt lgkmcnt(0)
	v_cmp_lt_f16_e32 vcc_lo, v1, v2
	s_orn2_b32 s0, vcc_lo, exec_lo
.LBB20_7:
	s_or_b32 exec_lo, exec_lo, s1
.LBB20_8:
	s_mov_b32 s1, 0
	s_lshl_b64 s[4:5], s[4:5], 3
	s_waitcnt vmcnt(0)
	v_lshlrev_b32_e32 v2, 3, v0
	v_cndmask_b32_e64 v0, 0, 1, s0
	v_mov_b32_e32 v1, s1
	s_add_u32 s0, s2, s4
	s_addc_u32 s1, s3, s5
	global_store_dwordx2 v2, v[0:1], s[0:1]
	s_endpgm
	.section	.rodata,"a",@progbits
	.p2align	6, 0x0
	.amdhsa_kernel _Z17flag_heads_kernelI6__halfiN10test_utils4lessELj256ELj1EEvPT_Px
		.amdhsa_group_segment_fixed_size 1024
		.amdhsa_private_segment_fixed_size 0
		.amdhsa_kernarg_size 16
		.amdhsa_user_sgpr_count 6
		.amdhsa_user_sgpr_private_segment_buffer 1
		.amdhsa_user_sgpr_dispatch_ptr 0
		.amdhsa_user_sgpr_queue_ptr 0
		.amdhsa_user_sgpr_kernarg_segment_ptr 1
		.amdhsa_user_sgpr_dispatch_id 0
		.amdhsa_user_sgpr_flat_scratch_init 0
		.amdhsa_user_sgpr_private_segment_size 0
		.amdhsa_wavefront_size32 1
		.amdhsa_uses_dynamic_stack 0
		.amdhsa_system_sgpr_private_segment_wavefront_offset 0
		.amdhsa_system_sgpr_workgroup_id_x 1
		.amdhsa_system_sgpr_workgroup_id_y 0
		.amdhsa_system_sgpr_workgroup_id_z 0
		.amdhsa_system_sgpr_workgroup_info 0
		.amdhsa_system_vgpr_workitem_id 0
		.amdhsa_next_free_vgpr 4
		.amdhsa_next_free_sgpr 10
		.amdhsa_reserve_vcc 1
		.amdhsa_reserve_flat_scratch 0
		.amdhsa_float_round_mode_32 0
		.amdhsa_float_round_mode_16_64 0
		.amdhsa_float_denorm_mode_32 3
		.amdhsa_float_denorm_mode_16_64 3
		.amdhsa_dx10_clamp 1
		.amdhsa_ieee_mode 1
		.amdhsa_fp16_overflow 0
		.amdhsa_workgroup_processor_mode 1
		.amdhsa_memory_ordered 1
		.amdhsa_forward_progress 1
		.amdhsa_shared_vgpr_count 0
		.amdhsa_exception_fp_ieee_invalid_op 0
		.amdhsa_exception_fp_denorm_src 0
		.amdhsa_exception_fp_ieee_div_zero 0
		.amdhsa_exception_fp_ieee_overflow 0
		.amdhsa_exception_fp_ieee_underflow 0
		.amdhsa_exception_fp_ieee_inexact 0
		.amdhsa_exception_int_div_zero 0
	.end_amdhsa_kernel
	.section	.text._Z17flag_heads_kernelI6__halfiN10test_utils4lessELj256ELj1EEvPT_Px,"axG",@progbits,_Z17flag_heads_kernelI6__halfiN10test_utils4lessELj256ELj1EEvPT_Px,comdat
.Lfunc_end20:
	.size	_Z17flag_heads_kernelI6__halfiN10test_utils4lessELj256ELj1EEvPT_Px, .Lfunc_end20-_Z17flag_heads_kernelI6__halfiN10test_utils4lessELj256ELj1EEvPT_Px
                                        ; -- End function
	.set _Z17flag_heads_kernelI6__halfiN10test_utils4lessELj256ELj1EEvPT_Px.num_vgpr, 4
	.set _Z17flag_heads_kernelI6__halfiN10test_utils4lessELj256ELj1EEvPT_Px.num_agpr, 0
	.set _Z17flag_heads_kernelI6__halfiN10test_utils4lessELj256ELj1EEvPT_Px.numbered_sgpr, 10
	.set _Z17flag_heads_kernelI6__halfiN10test_utils4lessELj256ELj1EEvPT_Px.num_named_barrier, 0
	.set _Z17flag_heads_kernelI6__halfiN10test_utils4lessELj256ELj1EEvPT_Px.private_seg_size, 0
	.set _Z17flag_heads_kernelI6__halfiN10test_utils4lessELj256ELj1EEvPT_Px.uses_vcc, 1
	.set _Z17flag_heads_kernelI6__halfiN10test_utils4lessELj256ELj1EEvPT_Px.uses_flat_scratch, 0
	.set _Z17flag_heads_kernelI6__halfiN10test_utils4lessELj256ELj1EEvPT_Px.has_dyn_sized_stack, 0
	.set _Z17flag_heads_kernelI6__halfiN10test_utils4lessELj256ELj1EEvPT_Px.has_recursion, 0
	.set _Z17flag_heads_kernelI6__halfiN10test_utils4lessELj256ELj1EEvPT_Px.has_indirect_call, 0
	.section	.AMDGPU.csdata,"",@progbits
; Kernel info:
; codeLenInByte = 276
; TotalNumSgprs: 12
; NumVgprs: 4
; ScratchSize: 0
; MemoryBound: 0
; FloatMode: 240
; IeeeMode: 1
; LDSByteSize: 1024 bytes/workgroup (compile time only)
; SGPRBlocks: 0
; VGPRBlocks: 0
; NumSGPRsForWavesPerEU: 12
; NumVGPRsForWavesPerEU: 4
; Occupancy: 16
; WaveLimiterHint : 0
; COMPUTE_PGM_RSRC2:SCRATCH_EN: 0
; COMPUTE_PGM_RSRC2:USER_SGPR: 6
; COMPUTE_PGM_RSRC2:TRAP_HANDLER: 0
; COMPUTE_PGM_RSRC2:TGID_X_EN: 1
; COMPUTE_PGM_RSRC2:TGID_Y_EN: 0
; COMPUTE_PGM_RSRC2:TGID_Z_EN: 0
; COMPUTE_PGM_RSRC2:TIDIG_COMP_CNT: 0
	.section	.text._Z17flag_heads_kernelIfiN10test_utils4lessELj256ELj1EEvPT_Px,"axG",@progbits,_Z17flag_heads_kernelIfiN10test_utils4lessELj256ELj1EEvPT_Px,comdat
	.protected	_Z17flag_heads_kernelIfiN10test_utils4lessELj256ELj1EEvPT_Px ; -- Begin function _Z17flag_heads_kernelIfiN10test_utils4lessELj256ELj1EEvPT_Px
	.globl	_Z17flag_heads_kernelIfiN10test_utils4lessELj256ELj1EEvPT_Px
	.p2align	8
	.type	_Z17flag_heads_kernelIfiN10test_utils4lessELj256ELj1EEvPT_Px,@function
_Z17flag_heads_kernelIfiN10test_utils4lessELj256ELj1EEvPT_Px: ; @_Z17flag_heads_kernelIfiN10test_utils4lessELj256ELj1EEvPT_Px
; %bb.0:
	s_load_dwordx4 s[0:3], s[4:5], 0x0
	s_lshl_b32 s4, s6, 8
	s_mov_b32 s5, 0
	v_lshlrev_b32_e32 v1, 2, v0
	s_lshl_b64 s[8:9], s[4:5], 2
	v_cmp_ne_u32_e32 vcc_lo, 0, v0
	s_waitcnt lgkmcnt(0)
	s_add_u32 s8, s0, s8
	s_addc_u32 s9, s1, s9
	s_bitcmp0_b32 s6, 0
	global_load_dword v2, v1, s[8:9]
	s_cbranch_scc1 .LBB21_4
; %bb.1:
	s_add_i32 s6, s4, -1
	s_mov_b32 s7, s5
	s_waitcnt vmcnt(0)
	ds_write_b32 v1, v2
	s_lshl_b64 s[6:7], s[6:7], 2
	s_add_u32 s0, s0, s6
	s_addc_u32 s1, s1, s7
	s_load_dword s0, s[0:1], 0x0
	s_waitcnt lgkmcnt(0)
	s_barrier
	buffer_gl0_inv
	v_mov_b32_e32 v3, s0
	s_and_saveexec_b32 s0, vcc_lo
; %bb.2:
	v_add_nc_u32_e32 v3, -4, v1
	ds_read_b32 v3, v3
; %bb.3:
	s_or_b32 exec_lo, exec_lo, s0
	s_waitcnt lgkmcnt(0)
	v_cmp_lt_f32_e64 s0, v3, v2
	s_branch .LBB21_8
.LBB21_4:
                                        ; implicit-def: $sgpr0
	s_cbranch_execz .LBB21_8
; %bb.5:
	s_mov_b32 s0, -1
	s_mov_b32 s1, exec_lo
	s_waitcnt vmcnt(0)
	ds_write_b32 v1, v2
	s_waitcnt lgkmcnt(0)
	s_barrier
	buffer_gl0_inv
	v_cmpx_ne_u32_e32 0, v0
	s_cbranch_execz .LBB21_7
; %bb.6:
	v_add_nc_u32_e32 v1, -4, v1
	ds_read_b32 v1, v1
	s_waitcnt lgkmcnt(0)
	v_cmp_lt_f32_e32 vcc_lo, v1, v2
	s_orn2_b32 s0, vcc_lo, exec_lo
.LBB21_7:
	s_or_b32 exec_lo, exec_lo, s1
.LBB21_8:
	s_mov_b32 s1, 0
	s_lshl_b64 s[4:5], s[4:5], 3
	s_waitcnt vmcnt(0)
	v_lshlrev_b32_e32 v2, 3, v0
	v_cndmask_b32_e64 v0, 0, 1, s0
	v_mov_b32_e32 v1, s1
	s_add_u32 s0, s2, s4
	s_addc_u32 s1, s3, s5
	global_store_dwordx2 v2, v[0:1], s[0:1]
	s_endpgm
	.section	.rodata,"a",@progbits
	.p2align	6, 0x0
	.amdhsa_kernel _Z17flag_heads_kernelIfiN10test_utils4lessELj256ELj1EEvPT_Px
		.amdhsa_group_segment_fixed_size 2048
		.amdhsa_private_segment_fixed_size 0
		.amdhsa_kernarg_size 16
		.amdhsa_user_sgpr_count 6
		.amdhsa_user_sgpr_private_segment_buffer 1
		.amdhsa_user_sgpr_dispatch_ptr 0
		.amdhsa_user_sgpr_queue_ptr 0
		.amdhsa_user_sgpr_kernarg_segment_ptr 1
		.amdhsa_user_sgpr_dispatch_id 0
		.amdhsa_user_sgpr_flat_scratch_init 0
		.amdhsa_user_sgpr_private_segment_size 0
		.amdhsa_wavefront_size32 1
		.amdhsa_uses_dynamic_stack 0
		.amdhsa_system_sgpr_private_segment_wavefront_offset 0
		.amdhsa_system_sgpr_workgroup_id_x 1
		.amdhsa_system_sgpr_workgroup_id_y 0
		.amdhsa_system_sgpr_workgroup_id_z 0
		.amdhsa_system_sgpr_workgroup_info 0
		.amdhsa_system_vgpr_workitem_id 0
		.amdhsa_next_free_vgpr 4
		.amdhsa_next_free_sgpr 10
		.amdhsa_reserve_vcc 1
		.amdhsa_reserve_flat_scratch 0
		.amdhsa_float_round_mode_32 0
		.amdhsa_float_round_mode_16_64 0
		.amdhsa_float_denorm_mode_32 3
		.amdhsa_float_denorm_mode_16_64 3
		.amdhsa_dx10_clamp 1
		.amdhsa_ieee_mode 1
		.amdhsa_fp16_overflow 0
		.amdhsa_workgroup_processor_mode 1
		.amdhsa_memory_ordered 1
		.amdhsa_forward_progress 1
		.amdhsa_shared_vgpr_count 0
		.amdhsa_exception_fp_ieee_invalid_op 0
		.amdhsa_exception_fp_denorm_src 0
		.amdhsa_exception_fp_ieee_div_zero 0
		.amdhsa_exception_fp_ieee_overflow 0
		.amdhsa_exception_fp_ieee_underflow 0
		.amdhsa_exception_fp_ieee_inexact 0
		.amdhsa_exception_int_div_zero 0
	.end_amdhsa_kernel
	.section	.text._Z17flag_heads_kernelIfiN10test_utils4lessELj256ELj1EEvPT_Px,"axG",@progbits,_Z17flag_heads_kernelIfiN10test_utils4lessELj256ELj1EEvPT_Px,comdat
.Lfunc_end21:
	.size	_Z17flag_heads_kernelIfiN10test_utils4lessELj256ELj1EEvPT_Px, .Lfunc_end21-_Z17flag_heads_kernelIfiN10test_utils4lessELj256ELj1EEvPT_Px
                                        ; -- End function
	.set _Z17flag_heads_kernelIfiN10test_utils4lessELj256ELj1EEvPT_Px.num_vgpr, 4
	.set _Z17flag_heads_kernelIfiN10test_utils4lessELj256ELj1EEvPT_Px.num_agpr, 0
	.set _Z17flag_heads_kernelIfiN10test_utils4lessELj256ELj1EEvPT_Px.numbered_sgpr, 10
	.set _Z17flag_heads_kernelIfiN10test_utils4lessELj256ELj1EEvPT_Px.num_named_barrier, 0
	.set _Z17flag_heads_kernelIfiN10test_utils4lessELj256ELj1EEvPT_Px.private_seg_size, 0
	.set _Z17flag_heads_kernelIfiN10test_utils4lessELj256ELj1EEvPT_Px.uses_vcc, 1
	.set _Z17flag_heads_kernelIfiN10test_utils4lessELj256ELj1EEvPT_Px.uses_flat_scratch, 0
	.set _Z17flag_heads_kernelIfiN10test_utils4lessELj256ELj1EEvPT_Px.has_dyn_sized_stack, 0
	.set _Z17flag_heads_kernelIfiN10test_utils4lessELj256ELj1EEvPT_Px.has_recursion, 0
	.set _Z17flag_heads_kernelIfiN10test_utils4lessELj256ELj1EEvPT_Px.has_indirect_call, 0
	.section	.AMDGPU.csdata,"",@progbits
; Kernel info:
; codeLenInByte = 276
; TotalNumSgprs: 12
; NumVgprs: 4
; ScratchSize: 0
; MemoryBound: 0
; FloatMode: 240
; IeeeMode: 1
; LDSByteSize: 2048 bytes/workgroup (compile time only)
; SGPRBlocks: 0
; VGPRBlocks: 0
; NumSGPRsForWavesPerEU: 12
; NumVGPRsForWavesPerEU: 4
; Occupancy: 16
; WaveLimiterHint : 0
; COMPUTE_PGM_RSRC2:SCRATCH_EN: 0
; COMPUTE_PGM_RSRC2:USER_SGPR: 6
; COMPUTE_PGM_RSRC2:TRAP_HANDLER: 0
; COMPUTE_PGM_RSRC2:TGID_X_EN: 1
; COMPUTE_PGM_RSRC2:TGID_Y_EN: 0
; COMPUTE_PGM_RSRC2:TGID_Z_EN: 0
; COMPUTE_PGM_RSRC2:TIDIG_COMP_CNT: 0
	.section	.text._Z17flag_heads_kernelIibN6hipcub10InequalityELj128ELj1EEvPT_Px,"axG",@progbits,_Z17flag_heads_kernelIibN6hipcub10InequalityELj128ELj1EEvPT_Px,comdat
	.protected	_Z17flag_heads_kernelIibN6hipcub10InequalityELj128ELj1EEvPT_Px ; -- Begin function _Z17flag_heads_kernelIibN6hipcub10InequalityELj128ELj1EEvPT_Px
	.globl	_Z17flag_heads_kernelIibN6hipcub10InequalityELj128ELj1EEvPT_Px
	.p2align	8
	.type	_Z17flag_heads_kernelIibN6hipcub10InequalityELj128ELj1EEvPT_Px,@function
_Z17flag_heads_kernelIibN6hipcub10InequalityELj128ELj1EEvPT_Px: ; @_Z17flag_heads_kernelIibN6hipcub10InequalityELj128ELj1EEvPT_Px
; %bb.0:
	s_load_dwordx4 s[0:3], s[4:5], 0x0
	s_lshl_b32 s4, s6, 7
	s_mov_b32 s5, 0
	v_lshlrev_b32_e32 v1, 2, v0
	s_lshl_b64 s[8:9], s[4:5], 2
	v_cmp_ne_u32_e32 vcc_lo, 0, v0
	s_waitcnt lgkmcnt(0)
	s_add_u32 s8, s0, s8
	s_addc_u32 s9, s1, s9
	s_bitcmp0_b32 s6, 0
	global_load_dword v2, v1, s[8:9]
	s_cbranch_scc1 .LBB22_4
; %bb.1:
	s_add_i32 s6, s4, -1
	s_mov_b32 s7, s5
	s_waitcnt vmcnt(0)
	ds_write_b32 v1, v2
	s_lshl_b64 s[6:7], s[6:7], 2
	s_add_u32 s0, s0, s6
	s_addc_u32 s1, s1, s7
	s_load_dword s0, s[0:1], 0x0
	s_waitcnt lgkmcnt(0)
	s_barrier
	buffer_gl0_inv
	v_mov_b32_e32 v3, s0
	s_and_saveexec_b32 s0, vcc_lo
; %bb.2:
	v_add_nc_u32_e32 v3, -4, v1
	ds_read_b32 v3, v3
; %bb.3:
	s_or_b32 exec_lo, exec_lo, s0
	s_waitcnt lgkmcnt(0)
	v_cmp_ne_u32_e64 s0, v3, v2
	s_branch .LBB22_8
.LBB22_4:
                                        ; implicit-def: $sgpr0
	s_cbranch_execz .LBB22_8
; %bb.5:
	s_mov_b32 s0, -1
	s_mov_b32 s1, exec_lo
	s_waitcnt vmcnt(0)
	ds_write_b32 v1, v2
	s_waitcnt lgkmcnt(0)
	s_barrier
	buffer_gl0_inv
	v_cmpx_ne_u32_e32 0, v0
	s_cbranch_execz .LBB22_7
; %bb.6:
	v_add_nc_u32_e32 v1, -4, v1
	ds_read_b32 v1, v1
	s_waitcnt lgkmcnt(0)
	v_cmp_ne_u32_e32 vcc_lo, v1, v2
	s_orn2_b32 s0, vcc_lo, exec_lo
.LBB22_7:
	s_or_b32 exec_lo, exec_lo, s1
.LBB22_8:
	s_mov_b32 s1, 0
	s_lshl_b64 s[4:5], s[4:5], 3
	s_waitcnt vmcnt(0)
	v_lshlrev_b32_e32 v2, 3, v0
	v_cndmask_b32_e64 v0, 0, 1, s0
	v_mov_b32_e32 v1, s1
	s_add_u32 s0, s2, s4
	s_addc_u32 s1, s3, s5
	global_store_dwordx2 v2, v[0:1], s[0:1]
	s_endpgm
	.section	.rodata,"a",@progbits
	.p2align	6, 0x0
	.amdhsa_kernel _Z17flag_heads_kernelIibN6hipcub10InequalityELj128ELj1EEvPT_Px
		.amdhsa_group_segment_fixed_size 1024
		.amdhsa_private_segment_fixed_size 0
		.amdhsa_kernarg_size 16
		.amdhsa_user_sgpr_count 6
		.amdhsa_user_sgpr_private_segment_buffer 1
		.amdhsa_user_sgpr_dispatch_ptr 0
		.amdhsa_user_sgpr_queue_ptr 0
		.amdhsa_user_sgpr_kernarg_segment_ptr 1
		.amdhsa_user_sgpr_dispatch_id 0
		.amdhsa_user_sgpr_flat_scratch_init 0
		.amdhsa_user_sgpr_private_segment_size 0
		.amdhsa_wavefront_size32 1
		.amdhsa_uses_dynamic_stack 0
		.amdhsa_system_sgpr_private_segment_wavefront_offset 0
		.amdhsa_system_sgpr_workgroup_id_x 1
		.amdhsa_system_sgpr_workgroup_id_y 0
		.amdhsa_system_sgpr_workgroup_id_z 0
		.amdhsa_system_sgpr_workgroup_info 0
		.amdhsa_system_vgpr_workitem_id 0
		.amdhsa_next_free_vgpr 4
		.amdhsa_next_free_sgpr 10
		.amdhsa_reserve_vcc 1
		.amdhsa_reserve_flat_scratch 0
		.amdhsa_float_round_mode_32 0
		.amdhsa_float_round_mode_16_64 0
		.amdhsa_float_denorm_mode_32 3
		.amdhsa_float_denorm_mode_16_64 3
		.amdhsa_dx10_clamp 1
		.amdhsa_ieee_mode 1
		.amdhsa_fp16_overflow 0
		.amdhsa_workgroup_processor_mode 1
		.amdhsa_memory_ordered 1
		.amdhsa_forward_progress 1
		.amdhsa_shared_vgpr_count 0
		.amdhsa_exception_fp_ieee_invalid_op 0
		.amdhsa_exception_fp_denorm_src 0
		.amdhsa_exception_fp_ieee_div_zero 0
		.amdhsa_exception_fp_ieee_overflow 0
		.amdhsa_exception_fp_ieee_underflow 0
		.amdhsa_exception_fp_ieee_inexact 0
		.amdhsa_exception_int_div_zero 0
	.end_amdhsa_kernel
	.section	.text._Z17flag_heads_kernelIibN6hipcub10InequalityELj128ELj1EEvPT_Px,"axG",@progbits,_Z17flag_heads_kernelIibN6hipcub10InequalityELj128ELj1EEvPT_Px,comdat
.Lfunc_end22:
	.size	_Z17flag_heads_kernelIibN6hipcub10InequalityELj128ELj1EEvPT_Px, .Lfunc_end22-_Z17flag_heads_kernelIibN6hipcub10InequalityELj128ELj1EEvPT_Px
                                        ; -- End function
	.set _Z17flag_heads_kernelIibN6hipcub10InequalityELj128ELj1EEvPT_Px.num_vgpr, 4
	.set _Z17flag_heads_kernelIibN6hipcub10InequalityELj128ELj1EEvPT_Px.num_agpr, 0
	.set _Z17flag_heads_kernelIibN6hipcub10InequalityELj128ELj1EEvPT_Px.numbered_sgpr, 10
	.set _Z17flag_heads_kernelIibN6hipcub10InequalityELj128ELj1EEvPT_Px.num_named_barrier, 0
	.set _Z17flag_heads_kernelIibN6hipcub10InequalityELj128ELj1EEvPT_Px.private_seg_size, 0
	.set _Z17flag_heads_kernelIibN6hipcub10InequalityELj128ELj1EEvPT_Px.uses_vcc, 1
	.set _Z17flag_heads_kernelIibN6hipcub10InequalityELj128ELj1EEvPT_Px.uses_flat_scratch, 0
	.set _Z17flag_heads_kernelIibN6hipcub10InequalityELj128ELj1EEvPT_Px.has_dyn_sized_stack, 0
	.set _Z17flag_heads_kernelIibN6hipcub10InequalityELj128ELj1EEvPT_Px.has_recursion, 0
	.set _Z17flag_heads_kernelIibN6hipcub10InequalityELj128ELj1EEvPT_Px.has_indirect_call, 0
	.section	.AMDGPU.csdata,"",@progbits
; Kernel info:
; codeLenInByte = 276
; TotalNumSgprs: 12
; NumVgprs: 4
; ScratchSize: 0
; MemoryBound: 0
; FloatMode: 240
; IeeeMode: 1
; LDSByteSize: 1024 bytes/workgroup (compile time only)
; SGPRBlocks: 0
; VGPRBlocks: 0
; NumSGPRsForWavesPerEU: 12
; NumVGPRsForWavesPerEU: 4
; Occupancy: 16
; WaveLimiterHint : 0
; COMPUTE_PGM_RSRC2:SCRATCH_EN: 0
; COMPUTE_PGM_RSRC2:USER_SGPR: 6
; COMPUTE_PGM_RSRC2:TRAP_HANDLER: 0
; COMPUTE_PGM_RSRC2:TGID_X_EN: 1
; COMPUTE_PGM_RSRC2:TGID_Y_EN: 0
; COMPUTE_PGM_RSRC2:TGID_Z_EN: 0
; COMPUTE_PGM_RSRC2:TIDIG_COMP_CNT: 0
	.section	.text._Z17flag_heads_kernelIjiN6hipcub8EqualityELj64ELj1EEvPT_Px,"axG",@progbits,_Z17flag_heads_kernelIjiN6hipcub8EqualityELj64ELj1EEvPT_Px,comdat
	.protected	_Z17flag_heads_kernelIjiN6hipcub8EqualityELj64ELj1EEvPT_Px ; -- Begin function _Z17flag_heads_kernelIjiN6hipcub8EqualityELj64ELj1EEvPT_Px
	.globl	_Z17flag_heads_kernelIjiN6hipcub8EqualityELj64ELj1EEvPT_Px
	.p2align	8
	.type	_Z17flag_heads_kernelIjiN6hipcub8EqualityELj64ELj1EEvPT_Px,@function
_Z17flag_heads_kernelIjiN6hipcub8EqualityELj64ELj1EEvPT_Px: ; @_Z17flag_heads_kernelIjiN6hipcub8EqualityELj64ELj1EEvPT_Px
; %bb.0:
	s_load_dwordx4 s[0:3], s[4:5], 0x0
	s_lshl_b32 s4, s6, 6
	s_mov_b32 s5, 0
	v_lshlrev_b32_e32 v1, 2, v0
	s_lshl_b64 s[8:9], s[4:5], 2
	v_cmp_ne_u32_e32 vcc_lo, 0, v0
	s_waitcnt lgkmcnt(0)
	s_add_u32 s8, s0, s8
	s_addc_u32 s9, s1, s9
	s_bitcmp0_b32 s6, 0
	global_load_dword v2, v1, s[8:9]
	s_cbranch_scc1 .LBB23_4
; %bb.1:
	s_add_i32 s6, s4, -1
	s_mov_b32 s7, s5
	s_waitcnt vmcnt(0)
	ds_write_b32 v1, v2
	s_lshl_b64 s[6:7], s[6:7], 2
	s_add_u32 s0, s0, s6
	s_addc_u32 s1, s1, s7
	s_load_dword s0, s[0:1], 0x0
	s_waitcnt lgkmcnt(0)
	s_barrier
	buffer_gl0_inv
	v_mov_b32_e32 v3, s0
	s_and_saveexec_b32 s0, vcc_lo
; %bb.2:
	v_add_nc_u32_e32 v3, -4, v1
	ds_read_b32 v3, v3
; %bb.3:
	s_or_b32 exec_lo, exec_lo, s0
	s_waitcnt lgkmcnt(0)
	v_cmp_eq_u32_e64 s0, v3, v2
	s_branch .LBB23_8
.LBB23_4:
                                        ; implicit-def: $sgpr0
	s_cbranch_execz .LBB23_8
; %bb.5:
	s_mov_b32 s0, -1
	s_mov_b32 s1, exec_lo
	s_waitcnt vmcnt(0)
	ds_write_b32 v1, v2
	s_waitcnt lgkmcnt(0)
	s_barrier
	buffer_gl0_inv
	v_cmpx_ne_u32_e32 0, v0
	s_cbranch_execz .LBB23_7
; %bb.6:
	v_add_nc_u32_e32 v1, -4, v1
	ds_read_b32 v1, v1
	s_waitcnt lgkmcnt(0)
	v_cmp_eq_u32_e32 vcc_lo, v1, v2
	s_orn2_b32 s0, vcc_lo, exec_lo
.LBB23_7:
	s_or_b32 exec_lo, exec_lo, s1
.LBB23_8:
	s_mov_b32 s1, 0
	s_lshl_b64 s[4:5], s[4:5], 3
	s_waitcnt vmcnt(0)
	v_lshlrev_b32_e32 v2, 3, v0
	v_cndmask_b32_e64 v0, 0, 1, s0
	v_mov_b32_e32 v1, s1
	s_add_u32 s0, s2, s4
	s_addc_u32 s1, s3, s5
	global_store_dwordx2 v2, v[0:1], s[0:1]
	s_endpgm
	.section	.rodata,"a",@progbits
	.p2align	6, 0x0
	.amdhsa_kernel _Z17flag_heads_kernelIjiN6hipcub8EqualityELj64ELj1EEvPT_Px
		.amdhsa_group_segment_fixed_size 512
		.amdhsa_private_segment_fixed_size 0
		.amdhsa_kernarg_size 16
		.amdhsa_user_sgpr_count 6
		.amdhsa_user_sgpr_private_segment_buffer 1
		.amdhsa_user_sgpr_dispatch_ptr 0
		.amdhsa_user_sgpr_queue_ptr 0
		.amdhsa_user_sgpr_kernarg_segment_ptr 1
		.amdhsa_user_sgpr_dispatch_id 0
		.amdhsa_user_sgpr_flat_scratch_init 0
		.amdhsa_user_sgpr_private_segment_size 0
		.amdhsa_wavefront_size32 1
		.amdhsa_uses_dynamic_stack 0
		.amdhsa_system_sgpr_private_segment_wavefront_offset 0
		.amdhsa_system_sgpr_workgroup_id_x 1
		.amdhsa_system_sgpr_workgroup_id_y 0
		.amdhsa_system_sgpr_workgroup_id_z 0
		.amdhsa_system_sgpr_workgroup_info 0
		.amdhsa_system_vgpr_workitem_id 0
		.amdhsa_next_free_vgpr 4
		.amdhsa_next_free_sgpr 10
		.amdhsa_reserve_vcc 1
		.amdhsa_reserve_flat_scratch 0
		.amdhsa_float_round_mode_32 0
		.amdhsa_float_round_mode_16_64 0
		.amdhsa_float_denorm_mode_32 3
		.amdhsa_float_denorm_mode_16_64 3
		.amdhsa_dx10_clamp 1
		.amdhsa_ieee_mode 1
		.amdhsa_fp16_overflow 0
		.amdhsa_workgroup_processor_mode 1
		.amdhsa_memory_ordered 1
		.amdhsa_forward_progress 1
		.amdhsa_shared_vgpr_count 0
		.amdhsa_exception_fp_ieee_invalid_op 0
		.amdhsa_exception_fp_denorm_src 0
		.amdhsa_exception_fp_ieee_div_zero 0
		.amdhsa_exception_fp_ieee_overflow 0
		.amdhsa_exception_fp_ieee_underflow 0
		.amdhsa_exception_fp_ieee_inexact 0
		.amdhsa_exception_int_div_zero 0
	.end_amdhsa_kernel
	.section	.text._Z17flag_heads_kernelIjiN6hipcub8EqualityELj64ELj1EEvPT_Px,"axG",@progbits,_Z17flag_heads_kernelIjiN6hipcub8EqualityELj64ELj1EEvPT_Px,comdat
.Lfunc_end23:
	.size	_Z17flag_heads_kernelIjiN6hipcub8EqualityELj64ELj1EEvPT_Px, .Lfunc_end23-_Z17flag_heads_kernelIjiN6hipcub8EqualityELj64ELj1EEvPT_Px
                                        ; -- End function
	.set _Z17flag_heads_kernelIjiN6hipcub8EqualityELj64ELj1EEvPT_Px.num_vgpr, 4
	.set _Z17flag_heads_kernelIjiN6hipcub8EqualityELj64ELj1EEvPT_Px.num_agpr, 0
	.set _Z17flag_heads_kernelIjiN6hipcub8EqualityELj64ELj1EEvPT_Px.numbered_sgpr, 10
	.set _Z17flag_heads_kernelIjiN6hipcub8EqualityELj64ELj1EEvPT_Px.num_named_barrier, 0
	.set _Z17flag_heads_kernelIjiN6hipcub8EqualityELj64ELj1EEvPT_Px.private_seg_size, 0
	.set _Z17flag_heads_kernelIjiN6hipcub8EqualityELj64ELj1EEvPT_Px.uses_vcc, 1
	.set _Z17flag_heads_kernelIjiN6hipcub8EqualityELj64ELj1EEvPT_Px.uses_flat_scratch, 0
	.set _Z17flag_heads_kernelIjiN6hipcub8EqualityELj64ELj1EEvPT_Px.has_dyn_sized_stack, 0
	.set _Z17flag_heads_kernelIjiN6hipcub8EqualityELj64ELj1EEvPT_Px.has_recursion, 0
	.set _Z17flag_heads_kernelIjiN6hipcub8EqualityELj64ELj1EEvPT_Px.has_indirect_call, 0
	.section	.AMDGPU.csdata,"",@progbits
; Kernel info:
; codeLenInByte = 276
; TotalNumSgprs: 12
; NumVgprs: 4
; ScratchSize: 0
; MemoryBound: 0
; FloatMode: 240
; IeeeMode: 1
; LDSByteSize: 512 bytes/workgroup (compile time only)
; SGPRBlocks: 0
; VGPRBlocks: 0
; NumSGPRsForWavesPerEU: 12
; NumVGPRsForWavesPerEU: 4
; Occupancy: 16
; WaveLimiterHint : 0
; COMPUTE_PGM_RSRC2:SCRATCH_EN: 0
; COMPUTE_PGM_RSRC2:USER_SGPR: 6
; COMPUTE_PGM_RSRC2:TRAP_HANDLER: 0
; COMPUTE_PGM_RSRC2:TGID_X_EN: 1
; COMPUTE_PGM_RSRC2:TGID_Y_EN: 0
; COMPUTE_PGM_RSRC2:TGID_Z_EN: 0
; COMPUTE_PGM_RSRC2:TIDIG_COMP_CNT: 0
	.section	.text._Z17flag_tails_kernelIsb15custom_flag_op1IsELj234ELj9EEvPT_Px,"axG",@progbits,_Z17flag_tails_kernelIsb15custom_flag_op1IsELj234ELj9EEvPT_Px,comdat
	.protected	_Z17flag_tails_kernelIsb15custom_flag_op1IsELj234ELj9EEvPT_Px ; -- Begin function _Z17flag_tails_kernelIsb15custom_flag_op1IsELj234ELj9EEvPT_Px
	.globl	_Z17flag_tails_kernelIsb15custom_flag_op1IsELj234ELj9EEvPT_Px
	.p2align	8
	.type	_Z17flag_tails_kernelIsb15custom_flag_op1IsELj234ELj9EEvPT_Px,@function
_Z17flag_tails_kernelIsb15custom_flag_op1IsELj234ELj9EEvPT_Px: ; @_Z17flag_tails_kernelIsb15custom_flag_op1IsELj234ELj9EEvPT_Px
; %bb.0:
	s_load_dwordx4 s[8:11], s[4:5], 0x0
	v_mul_u32_u24_e32 v7, 9, v0
	s_mov_b32 s3, 0
	s_mul_i32 s2, s6, 0x83a
	v_lshlrev_b32_e32 v8, 1, v0
	s_lshl_b64 s[0:1], s[2:3], 1
	v_lshlrev_b32_e32 v1, 1, v7
	s_waitcnt lgkmcnt(0)
	s_add_u32 s0, s8, s0
	s_addc_u32 s1, s9, s1
	s_bitcmp1_b32 s6, 0
	s_clause 0x1
	global_load_dwordx2 v[5:6], v1, s[0:1]
	global_load_dwordx4 v[1:4], v1, s[0:1] offset:2
	s_cselect_b32 s0, -1, 0
	s_and_b32 vcc_lo, exec_lo, s0
	v_cmp_ne_u32_e64 s0, 0xe9, v0
	s_waitcnt vmcnt(0)
	v_cmp_eq_u16_sdwa s1, v6, v2 src0_sel:WORD_1 src1_sel:WORD_1
	v_cmp_eq_u16_sdwa s4, v3, v3 src0_sel:DWORD src1_sel:WORD_1
	v_cmp_eq_u16_sdwa s5, v4, v4 src0_sel:DWORD src1_sel:WORD_1
	s_cbranch_vccz .LBB24_4
; %bb.1:
	v_cndmask_b32_e64 v10, 0, 1, s4
	v_cmp_eq_u16_sdwa s4, v5, v6 src0_sel:WORD_1 src1_sel:DWORD
	v_cndmask_b32_e64 v9, 0, 1, s5
	v_cndmask_b32_e64 v12, 0, 1, s1
	v_cmp_eq_u16_sdwa s1, v5, v5 src0_sel:WORD_1 src1_sel:DWORD
	v_mov_b32_e32 v13, 8
	v_cndmask_b32_e64 v11, 0, 1, s4
	v_lshlrev_b16 v9, 8, v9
	v_lshlrev_b16 v10, 8, v10
	v_lshlrev_b16 v12, 8, v12
	v_cndmask_b32_e64 v14, 0, 1, s1
	v_lshlrev_b16 v11, 8, v11
	v_cmp_eq_u16_sdwa s1, v6, v6 src0_sel:WORD_1 src1_sel:DWORD
	v_lshrrev_b32_sdwa v9, v13, v9 dst_sel:BYTE_1 dst_unused:UNUSED_PAD src0_sel:DWORD src1_sel:DWORD
	v_lshrrev_b32_sdwa v10, v13, v10 dst_sel:BYTE_1 dst_unused:UNUSED_PAD src0_sel:DWORD src1_sel:DWORD
	;; [unrolled: 1-line block ×4, first 2 shown]
	v_cndmask_b32_e64 v13, 0, 1, s1
	v_cmp_eq_u16_sdwa s1, v3, v2 src0_sel:DWORD src1_sel:WORD_1
	ds_write_b16 v8, v5 offset:468
	s_waitcnt lgkmcnt(0)
	v_or_b32_e32 v11, v14, v11
	v_or_b32_sdwa v12, v13, v12 dst_sel:WORD_1 dst_unused:UNUSED_PAD src0_sel:DWORD src1_sel:DWORD
	v_cndmask_b32_e64 v15, 0, 1, s1
	v_cmp_eq_u16_sdwa s1, v4, v3 src0_sel:DWORD src1_sel:WORD_1
	s_barrier
	buffer_gl0_inv
	v_or_b32_sdwa v11, v11, v12 dst_sel:DWORD dst_unused:UNUSED_PAD src0_sel:WORD_0 src1_sel:DWORD
	v_or_b32_e32 v10, v15, v10
	v_cndmask_b32_e64 v16, 0, 1, s1
	v_or_b32_sdwa v9, v16, v9 dst_sel:WORD_1 dst_unused:UNUSED_PAD src0_sel:DWORD src1_sel:DWORD
	v_or_b32_sdwa v10, v10, v9 dst_sel:DWORD dst_unused:UNUSED_PAD src0_sel:WORD_0 src1_sel:DWORD
	v_mov_b32_e32 v9, 1
	s_and_saveexec_b32 s1, s0
	s_cbranch_execz .LBB24_3
; %bb.2:
	ds_read_u16 v9, v8 offset:470
	s_waitcnt lgkmcnt(0)
	v_cmp_eq_u16_sdwa s0, v4, v9 src0_sel:WORD_1 src1_sel:DWORD
	v_cndmask_b32_e64 v9, 0, 1, s0
.LBB24_3:
	s_or_b32 exec_lo, exec_lo, s1
	s_cbranch_execz .LBB24_5
	s_branch .LBB24_8
.LBB24_4:
                                        ; implicit-def: $vgpr9
                                        ; implicit-def: $vgpr10
                                        ; implicit-def: $vgpr11
.LBB24_5:
	s_add_i32 s0, s2, 0x83a
	s_mov_b32 s1, 0
	v_mov_b32_e32 v9, 0
	s_lshl_b64 s[0:1], s[0:1], 1
	ds_write_b16 v8, v5 offset:468
	s_add_u32 s0, s8, s0
	s_addc_u32 s1, s9, s1
	global_load_ushort v9, v9, s[0:1]
	s_mov_b32 s0, exec_lo
	s_waitcnt vmcnt(0) lgkmcnt(0)
	s_barrier
	buffer_gl0_inv
	v_cmpx_ne_u32_e32 0xe9, v0
; %bb.6:
	ds_read_u16 v9, v8 offset:470
; %bb.7:
	s_or_b32 exec_lo, exec_lo, s0
	v_cmp_eq_u16_sdwa s0, v6, v2 src0_sel:WORD_1 src1_sel:WORD_1
	v_cmp_eq_u16_e32 vcc_lo, v5, v1
	v_mov_b32_e32 v12, 8
	v_cndmask_b32_e64 v0, 0, 1, s0
	v_cmp_eq_u16_sdwa s0, v3, v3 src0_sel:DWORD src1_sel:WORD_1
	v_lshlrev_b16 v0, 8, v0
	v_cndmask_b32_e64 v8, 0, 1, s0
	v_cmp_eq_u16_sdwa s0, v5, v1 src0_sel:WORD_1 src1_sel:WORD_1
	v_cndmask_b32_e64 v1, 0, 1, vcc_lo
	v_cmp_eq_u16_e32 vcc_lo, v6, v2
	v_lshrrev_b32_sdwa v0, v12, v0 dst_sel:BYTE_1 dst_unused:UNUSED_PAD src0_sel:DWORD src1_sel:DWORD
	v_lshlrev_b16 v8, 8, v8
	v_cndmask_b32_e64 v10, 0, 1, s0
	v_cmp_eq_u16_sdwa s0, v4, v4 src0_sel:DWORD src1_sel:WORD_1
	v_cndmask_b32_e64 v5, 0, 1, vcc_lo
	v_lshrrev_b32_sdwa v8, v12, v8 dst_sel:BYTE_1 dst_unused:UNUSED_PAD src0_sel:DWORD src1_sel:DWORD
	v_lshlrev_b16 v10, 8, v10
	v_cndmask_b32_e64 v11, 0, 1, s0
	v_cmp_eq_u16_sdwa s0, v2, v3 src0_sel:WORD_1 src1_sel:DWORD
	v_or_b32_sdwa v0, v5, v0 dst_sel:WORD_1 dst_unused:UNUSED_PAD src0_sel:DWORD src1_sel:DWORD
	v_lshrrev_b32_sdwa v10, v12, v10 dst_sel:BYTE_1 dst_unused:UNUSED_PAD src0_sel:DWORD src1_sel:DWORD
	v_lshlrev_b16 v11, 8, v11
	v_cndmask_b32_e64 v2, 0, 1, s0
	v_cmp_eq_u16_sdwa s0, v3, v4 src0_sel:WORD_1 src1_sel:DWORD
	v_or_b32_e32 v1, v1, v10
	v_or_b32_e32 v2, v2, v8
	v_cndmask_b32_e64 v3, 0, 1, s0
	s_waitcnt lgkmcnt(0)
	v_cmp_eq_u16_sdwa s0, v4, v9 src0_sel:WORD_1 src1_sel:DWORD
	v_or_b32_sdwa v3, v3, v11 dst_sel:WORD_1 dst_unused:UNUSED_PAD src0_sel:DWORD src1_sel:DWORD
	v_cndmask_b32_e64 v9, 0, 1, s0
	v_or_b32_sdwa v11, v1, v0 dst_sel:DWORD dst_unused:UNUSED_PAD src0_sel:WORD_0 src1_sel:DWORD
	v_or_b32_sdwa v10, v2, v3 dst_sel:DWORD dst_unused:UNUSED_PAD src0_sel:WORD_0 src1_sel:DWORD
.LBB24_8:
	v_mov_b32_e32 v1, 0
	s_lshl_b64 s[0:1], s[2:3], 3
	v_lshlrev_b32_e32 v4, 3, v7
	v_and_b32_e32 v0, 0xff, v11
	v_bfe_u32 v2, v11, 8, 8
	v_mov_b32_e32 v3, v1
	s_add_u32 s0, s10, s0
	s_addc_u32 s1, s11, s1
	global_store_dwordx4 v4, v[0:3], s[0:1]
	v_lshrrev_b32_e32 v2, 24, v11
	v_bfe_u32 v0, v11, 16, 8
	global_store_dwordx4 v4, v[0:3], s[0:1] offset:16
	v_and_b32_e32 v0, 0xff, v10
	v_bfe_u32 v2, v10, 8, 8
	global_store_dwordx4 v4, v[0:3], s[0:1] offset:32
	v_lshrrev_b32_e32 v2, 24, v10
	v_bfe_u32 v0, v10, 16, 8
	global_store_dwordx4 v4, v[0:3], s[0:1] offset:48
	v_and_b32_e32 v0, 0xff, v9
	global_store_dwordx2 v4, v[0:1], s[0:1] offset:64
	s_endpgm
	.section	.rodata,"a",@progbits
	.p2align	6, 0x0
	.amdhsa_kernel _Z17flag_tails_kernelIsb15custom_flag_op1IsELj234ELj9EEvPT_Px
		.amdhsa_group_segment_fixed_size 936
		.amdhsa_private_segment_fixed_size 0
		.amdhsa_kernarg_size 16
		.amdhsa_user_sgpr_count 6
		.amdhsa_user_sgpr_private_segment_buffer 1
		.amdhsa_user_sgpr_dispatch_ptr 0
		.amdhsa_user_sgpr_queue_ptr 0
		.amdhsa_user_sgpr_kernarg_segment_ptr 1
		.amdhsa_user_sgpr_dispatch_id 0
		.amdhsa_user_sgpr_flat_scratch_init 0
		.amdhsa_user_sgpr_private_segment_size 0
		.amdhsa_wavefront_size32 1
		.amdhsa_uses_dynamic_stack 0
		.amdhsa_system_sgpr_private_segment_wavefront_offset 0
		.amdhsa_system_sgpr_workgroup_id_x 1
		.amdhsa_system_sgpr_workgroup_id_y 0
		.amdhsa_system_sgpr_workgroup_id_z 0
		.amdhsa_system_sgpr_workgroup_info 0
		.amdhsa_system_vgpr_workitem_id 0
		.amdhsa_next_free_vgpr 17
		.amdhsa_next_free_sgpr 12
		.amdhsa_reserve_vcc 1
		.amdhsa_reserve_flat_scratch 0
		.amdhsa_float_round_mode_32 0
		.amdhsa_float_round_mode_16_64 0
		.amdhsa_float_denorm_mode_32 3
		.amdhsa_float_denorm_mode_16_64 3
		.amdhsa_dx10_clamp 1
		.amdhsa_ieee_mode 1
		.amdhsa_fp16_overflow 0
		.amdhsa_workgroup_processor_mode 1
		.amdhsa_memory_ordered 1
		.amdhsa_forward_progress 1
		.amdhsa_shared_vgpr_count 0
		.amdhsa_exception_fp_ieee_invalid_op 0
		.amdhsa_exception_fp_denorm_src 0
		.amdhsa_exception_fp_ieee_div_zero 0
		.amdhsa_exception_fp_ieee_overflow 0
		.amdhsa_exception_fp_ieee_underflow 0
		.amdhsa_exception_fp_ieee_inexact 0
		.amdhsa_exception_int_div_zero 0
	.end_amdhsa_kernel
	.section	.text._Z17flag_tails_kernelIsb15custom_flag_op1IsELj234ELj9EEvPT_Px,"axG",@progbits,_Z17flag_tails_kernelIsb15custom_flag_op1IsELj234ELj9EEvPT_Px,comdat
.Lfunc_end24:
	.size	_Z17flag_tails_kernelIsb15custom_flag_op1IsELj234ELj9EEvPT_Px, .Lfunc_end24-_Z17flag_tails_kernelIsb15custom_flag_op1IsELj234ELj9EEvPT_Px
                                        ; -- End function
	.set _Z17flag_tails_kernelIsb15custom_flag_op1IsELj234ELj9EEvPT_Px.num_vgpr, 17
	.set _Z17flag_tails_kernelIsb15custom_flag_op1IsELj234ELj9EEvPT_Px.num_agpr, 0
	.set _Z17flag_tails_kernelIsb15custom_flag_op1IsELj234ELj9EEvPT_Px.numbered_sgpr, 12
	.set _Z17flag_tails_kernelIsb15custom_flag_op1IsELj234ELj9EEvPT_Px.num_named_barrier, 0
	.set _Z17flag_tails_kernelIsb15custom_flag_op1IsELj234ELj9EEvPT_Px.private_seg_size, 0
	.set _Z17flag_tails_kernelIsb15custom_flag_op1IsELj234ELj9EEvPT_Px.uses_vcc, 1
	.set _Z17flag_tails_kernelIsb15custom_flag_op1IsELj234ELj9EEvPT_Px.uses_flat_scratch, 0
	.set _Z17flag_tails_kernelIsb15custom_flag_op1IsELj234ELj9EEvPT_Px.has_dyn_sized_stack, 0
	.set _Z17flag_tails_kernelIsb15custom_flag_op1IsELj234ELj9EEvPT_Px.has_recursion, 0
	.set _Z17flag_tails_kernelIsb15custom_flag_op1IsELj234ELj9EEvPT_Px.has_indirect_call, 0
	.section	.AMDGPU.csdata,"",@progbits
; Kernel info:
; codeLenInByte = 868
; TotalNumSgprs: 14
; NumVgprs: 17
; ScratchSize: 0
; MemoryBound: 0
; FloatMode: 240
; IeeeMode: 1
; LDSByteSize: 936 bytes/workgroup (compile time only)
; SGPRBlocks: 0
; VGPRBlocks: 2
; NumSGPRsForWavesPerEU: 14
; NumVGPRsForWavesPerEU: 17
; Occupancy: 16
; WaveLimiterHint : 0
; COMPUTE_PGM_RSRC2:SCRATCH_EN: 0
; COMPUTE_PGM_RSRC2:USER_SGPR: 6
; COMPUTE_PGM_RSRC2:TRAP_HANDLER: 0
; COMPUTE_PGM_RSRC2:TGID_X_EN: 1
; COMPUTE_PGM_RSRC2:TGID_Y_EN: 0
; COMPUTE_PGM_RSRC2:TGID_Z_EN: 0
; COMPUTE_PGM_RSRC2:TIDIG_COMP_CNT: 0
	.section	.text._Z17flag_tails_kernelItiN10test_utils7greaterELj100ELj3EEvPT_Px,"axG",@progbits,_Z17flag_tails_kernelItiN10test_utils7greaterELj100ELj3EEvPT_Px,comdat
	.protected	_Z17flag_tails_kernelItiN10test_utils7greaterELj100ELj3EEvPT_Px ; -- Begin function _Z17flag_tails_kernelItiN10test_utils7greaterELj100ELj3EEvPT_Px
	.globl	_Z17flag_tails_kernelItiN10test_utils7greaterELj100ELj3EEvPT_Px
	.p2align	8
	.type	_Z17flag_tails_kernelItiN10test_utils7greaterELj100ELj3EEvPT_Px,@function
_Z17flag_tails_kernelItiN10test_utils7greaterELj100ELj3EEvPT_Px: ; @_Z17flag_tails_kernelItiN10test_utils7greaterELj100ELj3EEvPT_Px
; %bb.0:
	s_load_dwordx4 s[8:11], s[4:5], 0x0
	v_mul_u32_u24_e32 v2, 3, v0
	s_mov_b32 s3, 0
	s_mul_i32 s2, s6, 0x12c
	v_lshlrev_b32_e32 v7, 1, v0
	s_lshl_b64 s[0:1], s[2:3], 1
	v_lshlrev_b32_e32 v1, 1, v2
	s_waitcnt lgkmcnt(0)
	s_add_u32 s0, s8, s0
	s_addc_u32 s1, s9, s1
	s_bitcmp1_b32 s6, 0
	s_clause 0x1
	global_load_dword v6, v1, s[0:1]
	global_load_ushort v4, v1, s[0:1] offset:4
	s_cselect_b32 s0, -1, 0
	s_and_b32 vcc_lo, exec_lo, s0
	v_cmp_ne_u32_e64 s0, 0x63, v0
	s_waitcnt vmcnt(1)
	v_cmp_gt_u16_sdwa s1, v6, v6 src0_sel:DWORD src1_sel:WORD_1
	s_waitcnt vmcnt(0)
	v_cmp_gt_u16_sdwa s4, v6, v4 src0_sel:WORD_1 src1_sel:DWORD
	s_cbranch_vccz .LBB25_4
; %bb.1:
	v_mov_b32_e32 v5, 1
	ds_write_b16 v7, v6 offset:200
	s_waitcnt lgkmcnt(0)
	s_barrier
	buffer_gl0_inv
	s_and_saveexec_b32 s5, s0
	s_cbranch_execz .LBB25_3
; %bb.2:
	ds_read_u16 v1, v7 offset:202
	s_waitcnt lgkmcnt(0)
	v_cmp_gt_u16_e32 vcc_lo, v4, v1
	v_cndmask_b32_e64 v5, 0, 1, vcc_lo
.LBB25_3:
	s_or_b32 exec_lo, exec_lo, s5
	v_cndmask_b32_e64 v1, 0, 1, s1
	v_cndmask_b32_e64 v3, 0, 1, s4
	s_cbranch_execz .LBB25_5
	s_branch .LBB25_8
.LBB25_4:
                                        ; implicit-def: $vgpr5
                                        ; implicit-def: $vgpr3
.LBB25_5:
	s_add_i32 s0, s2, 0x12c
	s_mov_b32 s1, 0
	v_mov_b32_e32 v1, 0
	s_lshl_b64 s[0:1], s[0:1], 1
	ds_write_b16 v7, v6 offset:200
	s_add_u32 s0, s8, s0
	s_addc_u32 s1, s9, s1
	global_load_ushort v5, v1, s[0:1]
	s_mov_b32 s0, exec_lo
	s_waitcnt vmcnt(0) lgkmcnt(0)
	s_barrier
	buffer_gl0_inv
	v_cmpx_ne_u32_e32 0x63, v0
; %bb.6:
	ds_read_u16 v5, v7 offset:202
; %bb.7:
	s_or_b32 exec_lo, exec_lo, s0
	v_cmp_gt_u16_sdwa s0, v6, v6 src0_sel:DWORD src1_sel:WORD_1
	s_waitcnt lgkmcnt(0)
	v_cmp_gt_u16_e32 vcc_lo, v4, v5
	v_cndmask_b32_e64 v1, 0, 1, s0
	v_cmp_gt_u16_sdwa s0, v6, v4 src0_sel:WORD_1 src1_sel:DWORD
	v_cndmask_b32_e64 v5, 0, 1, vcc_lo
	v_cndmask_b32_e64 v3, 0, 1, s0
.LBB25_8:
	s_lshl_b64 s[0:1], s[2:3], 3
	v_lshlrev_b32_e32 v0, 3, v2
	v_ashrrev_i32_e32 v2, 31, v1
	v_ashrrev_i32_e32 v4, 31, v3
	;; [unrolled: 1-line block ×3, first 2 shown]
	s_add_u32 s0, s10, s0
	s_addc_u32 s1, s11, s1
	global_store_dwordx4 v0, v[1:4], s[0:1]
	global_store_dwordx2 v0, v[5:6], s[0:1] offset:16
	s_endpgm
	.section	.rodata,"a",@progbits
	.p2align	6, 0x0
	.amdhsa_kernel _Z17flag_tails_kernelItiN10test_utils7greaterELj100ELj3EEvPT_Px
		.amdhsa_group_segment_fixed_size 400
		.amdhsa_private_segment_fixed_size 0
		.amdhsa_kernarg_size 16
		.amdhsa_user_sgpr_count 6
		.amdhsa_user_sgpr_private_segment_buffer 1
		.amdhsa_user_sgpr_dispatch_ptr 0
		.amdhsa_user_sgpr_queue_ptr 0
		.amdhsa_user_sgpr_kernarg_segment_ptr 1
		.amdhsa_user_sgpr_dispatch_id 0
		.amdhsa_user_sgpr_flat_scratch_init 0
		.amdhsa_user_sgpr_private_segment_size 0
		.amdhsa_wavefront_size32 1
		.amdhsa_uses_dynamic_stack 0
		.amdhsa_system_sgpr_private_segment_wavefront_offset 0
		.amdhsa_system_sgpr_workgroup_id_x 1
		.amdhsa_system_sgpr_workgroup_id_y 0
		.amdhsa_system_sgpr_workgroup_id_z 0
		.amdhsa_system_sgpr_workgroup_info 0
		.amdhsa_system_vgpr_workitem_id 0
		.amdhsa_next_free_vgpr 8
		.amdhsa_next_free_sgpr 12
		.amdhsa_reserve_vcc 1
		.amdhsa_reserve_flat_scratch 0
		.amdhsa_float_round_mode_32 0
		.amdhsa_float_round_mode_16_64 0
		.amdhsa_float_denorm_mode_32 3
		.amdhsa_float_denorm_mode_16_64 3
		.amdhsa_dx10_clamp 1
		.amdhsa_ieee_mode 1
		.amdhsa_fp16_overflow 0
		.amdhsa_workgroup_processor_mode 1
		.amdhsa_memory_ordered 1
		.amdhsa_forward_progress 1
		.amdhsa_shared_vgpr_count 0
		.amdhsa_exception_fp_ieee_invalid_op 0
		.amdhsa_exception_fp_denorm_src 0
		.amdhsa_exception_fp_ieee_div_zero 0
		.amdhsa_exception_fp_ieee_overflow 0
		.amdhsa_exception_fp_ieee_underflow 0
		.amdhsa_exception_fp_ieee_inexact 0
		.amdhsa_exception_int_div_zero 0
	.end_amdhsa_kernel
	.section	.text._Z17flag_tails_kernelItiN10test_utils7greaterELj100ELj3EEvPT_Px,"axG",@progbits,_Z17flag_tails_kernelItiN10test_utils7greaterELj100ELj3EEvPT_Px,comdat
.Lfunc_end25:
	.size	_Z17flag_tails_kernelItiN10test_utils7greaterELj100ELj3EEvPT_Px, .Lfunc_end25-_Z17flag_tails_kernelItiN10test_utils7greaterELj100ELj3EEvPT_Px
                                        ; -- End function
	.set _Z17flag_tails_kernelItiN10test_utils7greaterELj100ELj3EEvPT_Px.num_vgpr, 8
	.set _Z17flag_tails_kernelItiN10test_utils7greaterELj100ELj3EEvPT_Px.num_agpr, 0
	.set _Z17flag_tails_kernelItiN10test_utils7greaterELj100ELj3EEvPT_Px.numbered_sgpr, 12
	.set _Z17flag_tails_kernelItiN10test_utils7greaterELj100ELj3EEvPT_Px.num_named_barrier, 0
	.set _Z17flag_tails_kernelItiN10test_utils7greaterELj100ELj3EEvPT_Px.private_seg_size, 0
	.set _Z17flag_tails_kernelItiN10test_utils7greaterELj100ELj3EEvPT_Px.uses_vcc, 1
	.set _Z17flag_tails_kernelItiN10test_utils7greaterELj100ELj3EEvPT_Px.uses_flat_scratch, 0
	.set _Z17flag_tails_kernelItiN10test_utils7greaterELj100ELj3EEvPT_Px.has_dyn_sized_stack, 0
	.set _Z17flag_tails_kernelItiN10test_utils7greaterELj100ELj3EEvPT_Px.has_recursion, 0
	.set _Z17flag_tails_kernelItiN10test_utils7greaterELj100ELj3EEvPT_Px.has_indirect_call, 0
	.section	.AMDGPU.csdata,"",@progbits
; Kernel info:
; codeLenInByte = 388
; TotalNumSgprs: 14
; NumVgprs: 8
; ScratchSize: 0
; MemoryBound: 0
; FloatMode: 240
; IeeeMode: 1
; LDSByteSize: 400 bytes/workgroup (compile time only)
; SGPRBlocks: 0
; VGPRBlocks: 0
; NumSGPRsForWavesPerEU: 14
; NumVGPRsForWavesPerEU: 8
; Occupancy: 16
; WaveLimiterHint : 0
; COMPUTE_PGM_RSRC2:SCRATCH_EN: 0
; COMPUTE_PGM_RSRC2:USER_SGPR: 6
; COMPUTE_PGM_RSRC2:TRAP_HANDLER: 0
; COMPUTE_PGM_RSRC2:TGID_X_EN: 1
; COMPUTE_PGM_RSRC2:TGID_Y_EN: 0
; COMPUTE_PGM_RSRC2:TGID_Z_EN: 0
; COMPUTE_PGM_RSRC2:TIDIG_COMP_CNT: 0
	.section	.text._Z17flag_tails_kernelI12hip_bfloat16jN10test_utils7greaterELj464ELj2EEvPT_Px,"axG",@progbits,_Z17flag_tails_kernelI12hip_bfloat16jN10test_utils7greaterELj464ELj2EEvPT_Px,comdat
	.protected	_Z17flag_tails_kernelI12hip_bfloat16jN10test_utils7greaterELj464ELj2EEvPT_Px ; -- Begin function _Z17flag_tails_kernelI12hip_bfloat16jN10test_utils7greaterELj464ELj2EEvPT_Px
	.globl	_Z17flag_tails_kernelI12hip_bfloat16jN10test_utils7greaterELj464ELj2EEvPT_Px
	.p2align	8
	.type	_Z17flag_tails_kernelI12hip_bfloat16jN10test_utils7greaterELj464ELj2EEvPT_Px,@function
_Z17flag_tails_kernelI12hip_bfloat16jN10test_utils7greaterELj464ELj2EEvPT_Px: ; @_Z17flag_tails_kernelI12hip_bfloat16jN10test_utils7greaterELj464ELj2EEvPT_Px
; %bb.0:
	s_load_dwordx4 s[8:11], s[4:5], 0x0
	s_mov_b32 s3, 0
	s_mul_i32 s2, s6, 0x3a0
	v_lshlrev_b32_e32 v1, 2, v0
	s_lshl_b64 s[0:1], s[2:3], 1
	v_lshlrev_b32_e32 v4, 1, v0
	s_waitcnt lgkmcnt(0)
	s_add_u32 s0, s8, s0
	s_addc_u32 s1, s9, s1
	s_bitcmp1_b32 s6, 0
	global_load_dword v2, v1, s[0:1]
	s_cselect_b32 s0, -1, 0
	s_and_b32 vcc_lo, exec_lo, s0
	v_cmp_ne_u32_e64 s0, 0x1cf, v0
	s_waitcnt vmcnt(0)
	v_lshlrev_b32_e32 v5, 16, v2
	s_cbranch_vccz .LBB26_4
; %bb.1:
	v_mov_b32_e32 v1, 16
	v_mov_b32_e32 v3, 1
	ds_write_b16 v4, v2 offset:928
	s_waitcnt lgkmcnt(0)
	s_barrier
	v_lshlrev_b32_sdwa v1, v1, v2 dst_sel:DWORD dst_unused:UNUSED_PAD src0_sel:DWORD src1_sel:WORD_1
	buffer_gl0_inv
	v_cmp_lt_f32_e32 vcc_lo, v1, v5
	s_and_saveexec_b32 s1, s0
	s_cbranch_execz .LBB26_3
; %bb.2:
	ds_read_u16 v3, v4 offset:930
	s_waitcnt lgkmcnt(0)
	v_lshlrev_b32_e32 v3, 16, v3
	v_cmp_lt_f32_e64 s0, v3, v1
	v_cndmask_b32_e64 v3, 0, 1, s0
.LBB26_3:
	s_or_b32 exec_lo, exec_lo, s1
	v_cndmask_b32_e64 v1, 0, 1, vcc_lo
	s_cbranch_execz .LBB26_5
	s_branch .LBB26_8
.LBB26_4:
                                        ; implicit-def: $vgpr3
.LBB26_5:
	s_add_i32 s0, s2, 0x3a0
	s_mov_b32 s1, 0
	v_mov_b32_e32 v1, 0
	s_lshl_b64 s[0:1], s[0:1], 1
	ds_write_b16 v4, v2 offset:928
	s_add_u32 s0, s8, s0
	s_addc_u32 s1, s9, s1
	global_load_ushort v1, v1, s[0:1]
	s_mov_b32 s0, exec_lo
	s_waitcnt vmcnt(0) lgkmcnt(0)
	s_barrier
	buffer_gl0_inv
	v_cmpx_ne_u32_e32 0x1cf, v0
; %bb.6:
	ds_read_u16 v1, v4 offset:930
; %bb.7:
	s_or_b32 exec_lo, exec_lo, s0
	v_mov_b32_e32 v0, 16
	v_lshlrev_b32_sdwa v0, v0, v2 dst_sel:DWORD dst_unused:UNUSED_PAD src0_sel:DWORD src1_sel:WORD_1
	s_waitcnt lgkmcnt(0)
	v_lshlrev_b32_e32 v2, 16, v1
	v_cmp_lt_f32_e32 vcc_lo, v0, v5
	v_cndmask_b32_e64 v1, 0, 1, vcc_lo
	v_cmp_lt_f32_e32 vcc_lo, v2, v0
	v_cndmask_b32_e64 v3, 0, 1, vcc_lo
.LBB26_8:
	v_mov_b32_e32 v2, 0
	s_lshl_b64 s[0:1], s[2:3], 3
	v_lshlrev_b32_e32 v0, 3, v4
	s_add_u32 s0, s10, s0
	s_addc_u32 s1, s11, s1
	v_mov_b32_e32 v4, v2
	global_store_dwordx4 v0, v[1:4], s[0:1]
	s_endpgm
	.section	.rodata,"a",@progbits
	.p2align	6, 0x0
	.amdhsa_kernel _Z17flag_tails_kernelI12hip_bfloat16jN10test_utils7greaterELj464ELj2EEvPT_Px
		.amdhsa_group_segment_fixed_size 1856
		.amdhsa_private_segment_fixed_size 0
		.amdhsa_kernarg_size 16
		.amdhsa_user_sgpr_count 6
		.amdhsa_user_sgpr_private_segment_buffer 1
		.amdhsa_user_sgpr_dispatch_ptr 0
		.amdhsa_user_sgpr_queue_ptr 0
		.amdhsa_user_sgpr_kernarg_segment_ptr 1
		.amdhsa_user_sgpr_dispatch_id 0
		.amdhsa_user_sgpr_flat_scratch_init 0
		.amdhsa_user_sgpr_private_segment_size 0
		.amdhsa_wavefront_size32 1
		.amdhsa_uses_dynamic_stack 0
		.amdhsa_system_sgpr_private_segment_wavefront_offset 0
		.amdhsa_system_sgpr_workgroup_id_x 1
		.amdhsa_system_sgpr_workgroup_id_y 0
		.amdhsa_system_sgpr_workgroup_id_z 0
		.amdhsa_system_sgpr_workgroup_info 0
		.amdhsa_system_vgpr_workitem_id 0
		.amdhsa_next_free_vgpr 6
		.amdhsa_next_free_sgpr 12
		.amdhsa_reserve_vcc 1
		.amdhsa_reserve_flat_scratch 0
		.amdhsa_float_round_mode_32 0
		.amdhsa_float_round_mode_16_64 0
		.amdhsa_float_denorm_mode_32 3
		.amdhsa_float_denorm_mode_16_64 3
		.amdhsa_dx10_clamp 1
		.amdhsa_ieee_mode 1
		.amdhsa_fp16_overflow 0
		.amdhsa_workgroup_processor_mode 1
		.amdhsa_memory_ordered 1
		.amdhsa_forward_progress 1
		.amdhsa_shared_vgpr_count 0
		.amdhsa_exception_fp_ieee_invalid_op 0
		.amdhsa_exception_fp_denorm_src 0
		.amdhsa_exception_fp_ieee_div_zero 0
		.amdhsa_exception_fp_ieee_overflow 0
		.amdhsa_exception_fp_ieee_underflow 0
		.amdhsa_exception_fp_ieee_inexact 0
		.amdhsa_exception_int_div_zero 0
	.end_amdhsa_kernel
	.section	.text._Z17flag_tails_kernelI12hip_bfloat16jN10test_utils7greaterELj464ELj2EEvPT_Px,"axG",@progbits,_Z17flag_tails_kernelI12hip_bfloat16jN10test_utils7greaterELj464ELj2EEvPT_Px,comdat
.Lfunc_end26:
	.size	_Z17flag_tails_kernelI12hip_bfloat16jN10test_utils7greaterELj464ELj2EEvPT_Px, .Lfunc_end26-_Z17flag_tails_kernelI12hip_bfloat16jN10test_utils7greaterELj464ELj2EEvPT_Px
                                        ; -- End function
	.set _Z17flag_tails_kernelI12hip_bfloat16jN10test_utils7greaterELj464ELj2EEvPT_Px.num_vgpr, 6
	.set _Z17flag_tails_kernelI12hip_bfloat16jN10test_utils7greaterELj464ELj2EEvPT_Px.num_agpr, 0
	.set _Z17flag_tails_kernelI12hip_bfloat16jN10test_utils7greaterELj464ELj2EEvPT_Px.numbered_sgpr, 12
	.set _Z17flag_tails_kernelI12hip_bfloat16jN10test_utils7greaterELj464ELj2EEvPT_Px.num_named_barrier, 0
	.set _Z17flag_tails_kernelI12hip_bfloat16jN10test_utils7greaterELj464ELj2EEvPT_Px.private_seg_size, 0
	.set _Z17flag_tails_kernelI12hip_bfloat16jN10test_utils7greaterELj464ELj2EEvPT_Px.uses_vcc, 1
	.set _Z17flag_tails_kernelI12hip_bfloat16jN10test_utils7greaterELj464ELj2EEvPT_Px.uses_flat_scratch, 0
	.set _Z17flag_tails_kernelI12hip_bfloat16jN10test_utils7greaterELj464ELj2EEvPT_Px.has_dyn_sized_stack, 0
	.set _Z17flag_tails_kernelI12hip_bfloat16jN10test_utils7greaterELj464ELj2EEvPT_Px.has_recursion, 0
	.set _Z17flag_tails_kernelI12hip_bfloat16jN10test_utils7greaterELj464ELj2EEvPT_Px.has_indirect_call, 0
	.section	.AMDGPU.csdata,"",@progbits
; Kernel info:
; codeLenInByte = 356
; TotalNumSgprs: 14
; NumVgprs: 6
; ScratchSize: 0
; MemoryBound: 0
; FloatMode: 240
; IeeeMode: 1
; LDSByteSize: 1856 bytes/workgroup (compile time only)
; SGPRBlocks: 0
; VGPRBlocks: 0
; NumSGPRsForWavesPerEU: 14
; NumVGPRsForWavesPerEU: 6
; Occupancy: 16
; WaveLimiterHint : 0
; COMPUTE_PGM_RSRC2:SCRATCH_EN: 0
; COMPUTE_PGM_RSRC2:USER_SGPR: 6
; COMPUTE_PGM_RSRC2:TRAP_HANDLER: 0
; COMPUTE_PGM_RSRC2:TGID_X_EN: 1
; COMPUTE_PGM_RSRC2:TGID_Y_EN: 0
; COMPUTE_PGM_RSRC2:TGID_Z_EN: 0
; COMPUTE_PGM_RSRC2:TIDIG_COMP_CNT: 0
	.section	.text._Z17flag_tails_kernelI6__halfjN10test_utils7greaterELj464ELj2EEvPT_Px,"axG",@progbits,_Z17flag_tails_kernelI6__halfjN10test_utils7greaterELj464ELj2EEvPT_Px,comdat
	.protected	_Z17flag_tails_kernelI6__halfjN10test_utils7greaterELj464ELj2EEvPT_Px ; -- Begin function _Z17flag_tails_kernelI6__halfjN10test_utils7greaterELj464ELj2EEvPT_Px
	.globl	_Z17flag_tails_kernelI6__halfjN10test_utils7greaterELj464ELj2EEvPT_Px
	.p2align	8
	.type	_Z17flag_tails_kernelI6__halfjN10test_utils7greaterELj464ELj2EEvPT_Px,@function
_Z17flag_tails_kernelI6__halfjN10test_utils7greaterELj464ELj2EEvPT_Px: ; @_Z17flag_tails_kernelI6__halfjN10test_utils7greaterELj464ELj2EEvPT_Px
; %bb.0:
	s_load_dwordx4 s[8:11], s[4:5], 0x0
	s_mov_b32 s3, 0
	s_mul_i32 s2, s6, 0x3a0
	v_lshlrev_b32_e32 v1, 2, v0
	s_lshl_b64 s[0:1], s[2:3], 1
	v_lshlrev_b32_e32 v4, 1, v0
	s_waitcnt lgkmcnt(0)
	s_add_u32 s0, s8, s0
	s_addc_u32 s1, s9, s1
	s_bitcmp1_b32 s6, 0
	global_load_dword v2, v1, s[0:1]
	s_cselect_b32 s0, -1, 0
	s_and_b32 vcc_lo, exec_lo, s0
	v_cmp_ne_u32_e64 s0, 0x1cf, v0
	s_waitcnt vmcnt(0)
	v_cmp_lt_f16_sdwa s1, v2, v2 src0_sel:WORD_1 src1_sel:DWORD
	s_cbranch_vccz .LBB27_4
; %bb.1:
	v_mov_b32_e32 v3, 1
	ds_write_b16 v4, v2 offset:928
	s_waitcnt lgkmcnt(0)
	s_barrier
	buffer_gl0_inv
	s_and_saveexec_b32 s4, s0
	s_cbranch_execz .LBB27_3
; %bb.2:
	ds_read_u16 v1, v4 offset:930
	s_waitcnt lgkmcnt(0)
	v_cmp_gt_f16_sdwa s0, v2, v1 src0_sel:WORD_1 src1_sel:DWORD
	v_cndmask_b32_e64 v3, 0, 1, s0
.LBB27_3:
	s_or_b32 exec_lo, exec_lo, s4
	v_cndmask_b32_e64 v1, 0, 1, s1
	s_cbranch_execz .LBB27_5
	s_branch .LBB27_8
.LBB27_4:
                                        ; implicit-def: $vgpr3
.LBB27_5:
	s_add_i32 s0, s2, 0x3a0
	s_mov_b32 s1, 0
	v_mov_b32_e32 v1, 0
	s_lshl_b64 s[0:1], s[0:1], 1
	ds_write_b16 v4, v2 offset:928
	s_add_u32 s0, s8, s0
	s_addc_u32 s1, s9, s1
	global_load_ushort v3, v1, s[0:1]
	s_mov_b32 s0, exec_lo
	s_waitcnt vmcnt(0) lgkmcnt(0)
	s_barrier
	buffer_gl0_inv
	v_cmpx_ne_u32_e32 0x1cf, v0
; %bb.6:
	ds_read_u16 v3, v4 offset:930
; %bb.7:
	s_or_b32 exec_lo, exec_lo, s0
	v_cmp_lt_f16_sdwa s0, v2, v2 src0_sel:WORD_1 src1_sel:DWORD
	v_cndmask_b32_e64 v1, 0, 1, s0
	s_waitcnt lgkmcnt(0)
	v_cmp_gt_f16_sdwa s0, v2, v3 src0_sel:WORD_1 src1_sel:DWORD
	v_cndmask_b32_e64 v3, 0, 1, s0
.LBB27_8:
	v_mov_b32_e32 v2, 0
	s_lshl_b64 s[0:1], s[2:3], 3
	v_lshlrev_b32_e32 v0, 3, v4
	s_add_u32 s0, s10, s0
	s_addc_u32 s1, s11, s1
	v_mov_b32_e32 v4, v2
	global_store_dwordx4 v0, v[1:4], s[0:1]
	s_endpgm
	.section	.rodata,"a",@progbits
	.p2align	6, 0x0
	.amdhsa_kernel _Z17flag_tails_kernelI6__halfjN10test_utils7greaterELj464ELj2EEvPT_Px
		.amdhsa_group_segment_fixed_size 1856
		.amdhsa_private_segment_fixed_size 0
		.amdhsa_kernarg_size 16
		.amdhsa_user_sgpr_count 6
		.amdhsa_user_sgpr_private_segment_buffer 1
		.amdhsa_user_sgpr_dispatch_ptr 0
		.amdhsa_user_sgpr_queue_ptr 0
		.amdhsa_user_sgpr_kernarg_segment_ptr 1
		.amdhsa_user_sgpr_dispatch_id 0
		.amdhsa_user_sgpr_flat_scratch_init 0
		.amdhsa_user_sgpr_private_segment_size 0
		.amdhsa_wavefront_size32 1
		.amdhsa_uses_dynamic_stack 0
		.amdhsa_system_sgpr_private_segment_wavefront_offset 0
		.amdhsa_system_sgpr_workgroup_id_x 1
		.amdhsa_system_sgpr_workgroup_id_y 0
		.amdhsa_system_sgpr_workgroup_id_z 0
		.amdhsa_system_sgpr_workgroup_info 0
		.amdhsa_system_vgpr_workitem_id 0
		.amdhsa_next_free_vgpr 5
		.amdhsa_next_free_sgpr 12
		.amdhsa_reserve_vcc 1
		.amdhsa_reserve_flat_scratch 0
		.amdhsa_float_round_mode_32 0
		.amdhsa_float_round_mode_16_64 0
		.amdhsa_float_denorm_mode_32 3
		.amdhsa_float_denorm_mode_16_64 3
		.amdhsa_dx10_clamp 1
		.amdhsa_ieee_mode 1
		.amdhsa_fp16_overflow 0
		.amdhsa_workgroup_processor_mode 1
		.amdhsa_memory_ordered 1
		.amdhsa_forward_progress 1
		.amdhsa_shared_vgpr_count 0
		.amdhsa_exception_fp_ieee_invalid_op 0
		.amdhsa_exception_fp_denorm_src 0
		.amdhsa_exception_fp_ieee_div_zero 0
		.amdhsa_exception_fp_ieee_overflow 0
		.amdhsa_exception_fp_ieee_underflow 0
		.amdhsa_exception_fp_ieee_inexact 0
		.amdhsa_exception_int_div_zero 0
	.end_amdhsa_kernel
	.section	.text._Z17flag_tails_kernelI6__halfjN10test_utils7greaterELj464ELj2EEvPT_Px,"axG",@progbits,_Z17flag_tails_kernelI6__halfjN10test_utils7greaterELj464ELj2EEvPT_Px,comdat
.Lfunc_end27:
	.size	_Z17flag_tails_kernelI6__halfjN10test_utils7greaterELj464ELj2EEvPT_Px, .Lfunc_end27-_Z17flag_tails_kernelI6__halfjN10test_utils7greaterELj464ELj2EEvPT_Px
                                        ; -- End function
	.set _Z17flag_tails_kernelI6__halfjN10test_utils7greaterELj464ELj2EEvPT_Px.num_vgpr, 5
	.set _Z17flag_tails_kernelI6__halfjN10test_utils7greaterELj464ELj2EEvPT_Px.num_agpr, 0
	.set _Z17flag_tails_kernelI6__halfjN10test_utils7greaterELj464ELj2EEvPT_Px.numbered_sgpr, 12
	.set _Z17flag_tails_kernelI6__halfjN10test_utils7greaterELj464ELj2EEvPT_Px.num_named_barrier, 0
	.set _Z17flag_tails_kernelI6__halfjN10test_utils7greaterELj464ELj2EEvPT_Px.private_seg_size, 0
	.set _Z17flag_tails_kernelI6__halfjN10test_utils7greaterELj464ELj2EEvPT_Px.uses_vcc, 1
	.set _Z17flag_tails_kernelI6__halfjN10test_utils7greaterELj464ELj2EEvPT_Px.uses_flat_scratch, 0
	.set _Z17flag_tails_kernelI6__halfjN10test_utils7greaterELj464ELj2EEvPT_Px.has_dyn_sized_stack, 0
	.set _Z17flag_tails_kernelI6__halfjN10test_utils7greaterELj464ELj2EEvPT_Px.has_recursion, 0
	.set _Z17flag_tails_kernelI6__halfjN10test_utils7greaterELj464ELj2EEvPT_Px.has_indirect_call, 0
	.section	.AMDGPU.csdata,"",@progbits
; Kernel info:
; codeLenInByte = 332
; TotalNumSgprs: 14
; NumVgprs: 5
; ScratchSize: 0
; MemoryBound: 0
; FloatMode: 240
; IeeeMode: 1
; LDSByteSize: 1856 bytes/workgroup (compile time only)
; SGPRBlocks: 0
; VGPRBlocks: 0
; NumSGPRsForWavesPerEU: 14
; NumVGPRsForWavesPerEU: 5
; Occupancy: 16
; WaveLimiterHint : 0
; COMPUTE_PGM_RSRC2:SCRATCH_EN: 0
; COMPUTE_PGM_RSRC2:USER_SGPR: 6
; COMPUTE_PGM_RSRC2:TRAP_HANDLER: 0
; COMPUTE_PGM_RSRC2:TGID_X_EN: 1
; COMPUTE_PGM_RSRC2:TGID_Y_EN: 0
; COMPUTE_PGM_RSRC2:TGID_Z_EN: 0
; COMPUTE_PGM_RSRC2:TIDIG_COMP_CNT: 0
	.section	.text._Z17flag_tails_kernelIdjN6hipcub8EqualityELj464ELj2EEvPT_Px,"axG",@progbits,_Z17flag_tails_kernelIdjN6hipcub8EqualityELj464ELj2EEvPT_Px,comdat
	.protected	_Z17flag_tails_kernelIdjN6hipcub8EqualityELj464ELj2EEvPT_Px ; -- Begin function _Z17flag_tails_kernelIdjN6hipcub8EqualityELj464ELj2EEvPT_Px
	.globl	_Z17flag_tails_kernelIdjN6hipcub8EqualityELj464ELj2EEvPT_Px
	.p2align	8
	.type	_Z17flag_tails_kernelIdjN6hipcub8EqualityELj464ELj2EEvPT_Px,@function
_Z17flag_tails_kernelIdjN6hipcub8EqualityELj464ELj2EEvPT_Px: ; @_Z17flag_tails_kernelIdjN6hipcub8EqualityELj464ELj2EEvPT_Px
; %bb.0:
	s_load_dwordx4 s[8:11], s[4:5], 0x0
	s_mul_i32 s4, s6, 0x3a0
	s_mov_b32 s5, 0
	v_lshlrev_b32_e32 v1, 4, v0
	s_lshl_b64 s[2:3], s[4:5], 3
	v_lshlrev_b32_e32 v8, 3, v0
	s_waitcnt lgkmcnt(0)
	s_add_u32 s0, s8, s2
	s_addc_u32 s1, s9, s3
	s_bitcmp1_b32 s6, 0
	global_load_dwordx4 v[1:4], v1, s[0:1]
	s_cselect_b32 s1, -1, 0
	s_and_b32 vcc_lo, exec_lo, s1
	v_cmp_ne_u32_e64 s1, 0x1cf, v0
	s_waitcnt vmcnt(0)
	v_cmp_eq_f64_e64 s0, v[1:2], v[3:4]
	s_cbranch_vccz .LBB28_4
; %bb.1:
	v_mov_b32_e32 v7, 1
	ds_write_b64 v8, v[1:2] offset:3712
	s_waitcnt lgkmcnt(0)
	s_barrier
	buffer_gl0_inv
	s_and_saveexec_b32 s5, s1
	s_cbranch_execz .LBB28_3
; %bb.2:
	ds_read_b64 v[5:6], v8 offset:3720
	s_waitcnt lgkmcnt(0)
	v_cmp_eq_f64_e32 vcc_lo, v[3:4], v[5:6]
	v_cndmask_b32_e64 v7, 0, 1, vcc_lo
.LBB28_3:
	s_or_b32 exec_lo, exec_lo, s5
	v_cndmask_b32_e64 v5, 0, 1, s0
	v_lshlrev_b32_e32 v9, 1, v0
	s_cbranch_execz .LBB28_5
	s_branch .LBB28_8
.LBB28_4:
                                        ; implicit-def: $vgpr7
	v_lshlrev_b32_e32 v9, 1, v0
.LBB28_5:
	s_add_i32 s0, s4, 0x3a0
	s_mov_b32 s1, 0
	ds_write_b64 v8, v[1:2] offset:3712
	s_lshl_b64 s[0:1], s[0:1], 3
	s_add_u32 s0, s8, s0
	s_addc_u32 s1, s9, s1
	s_load_dwordx2 s[0:1], s[0:1], 0x0
	s_waitcnt lgkmcnt(0)
	s_barrier
	buffer_gl0_inv
	v_mov_b32_e32 v7, s1
	v_mov_b32_e32 v6, s0
	s_mov_b32 s0, exec_lo
	v_cmpx_ne_u32_e32 0x1cf, v0
; %bb.6:
	ds_read_b64 v[6:7], v8 offset:3720
; %bb.7:
	s_or_b32 exec_lo, exec_lo, s0
	v_cmp_eq_f64_e32 vcc_lo, v[1:2], v[3:4]
	v_cndmask_b32_e64 v5, 0, 1, vcc_lo
	s_waitcnt lgkmcnt(0)
	v_cmp_eq_f64_e32 vcc_lo, v[3:4], v[6:7]
	v_cndmask_b32_e64 v7, 0, 1, vcc_lo
.LBB28_8:
	v_mov_b32_e32 v6, 0
	v_lshlrev_b32_e32 v0, 3, v9
	s_add_u32 s0, s10, s2
	s_addc_u32 s1, s11, s3
	v_mov_b32_e32 v8, v6
	global_store_dwordx4 v0, v[5:8], s[0:1]
	s_endpgm
	.section	.rodata,"a",@progbits
	.p2align	6, 0x0
	.amdhsa_kernel _Z17flag_tails_kernelIdjN6hipcub8EqualityELj464ELj2EEvPT_Px
		.amdhsa_group_segment_fixed_size 7424
		.amdhsa_private_segment_fixed_size 0
		.amdhsa_kernarg_size 16
		.amdhsa_user_sgpr_count 6
		.amdhsa_user_sgpr_private_segment_buffer 1
		.amdhsa_user_sgpr_dispatch_ptr 0
		.amdhsa_user_sgpr_queue_ptr 0
		.amdhsa_user_sgpr_kernarg_segment_ptr 1
		.amdhsa_user_sgpr_dispatch_id 0
		.amdhsa_user_sgpr_flat_scratch_init 0
		.amdhsa_user_sgpr_private_segment_size 0
		.amdhsa_wavefront_size32 1
		.amdhsa_uses_dynamic_stack 0
		.amdhsa_system_sgpr_private_segment_wavefront_offset 0
		.amdhsa_system_sgpr_workgroup_id_x 1
		.amdhsa_system_sgpr_workgroup_id_y 0
		.amdhsa_system_sgpr_workgroup_id_z 0
		.amdhsa_system_sgpr_workgroup_info 0
		.amdhsa_system_vgpr_workitem_id 0
		.amdhsa_next_free_vgpr 10
		.amdhsa_next_free_sgpr 12
		.amdhsa_reserve_vcc 1
		.amdhsa_reserve_flat_scratch 0
		.amdhsa_float_round_mode_32 0
		.amdhsa_float_round_mode_16_64 0
		.amdhsa_float_denorm_mode_32 3
		.amdhsa_float_denorm_mode_16_64 3
		.amdhsa_dx10_clamp 1
		.amdhsa_ieee_mode 1
		.amdhsa_fp16_overflow 0
		.amdhsa_workgroup_processor_mode 1
		.amdhsa_memory_ordered 1
		.amdhsa_forward_progress 1
		.amdhsa_shared_vgpr_count 0
		.amdhsa_exception_fp_ieee_invalid_op 0
		.amdhsa_exception_fp_denorm_src 0
		.amdhsa_exception_fp_ieee_div_zero 0
		.amdhsa_exception_fp_ieee_overflow 0
		.amdhsa_exception_fp_ieee_underflow 0
		.amdhsa_exception_fp_ieee_inexact 0
		.amdhsa_exception_int_div_zero 0
	.end_amdhsa_kernel
	.section	.text._Z17flag_tails_kernelIdjN6hipcub8EqualityELj464ELj2EEvPT_Px,"axG",@progbits,_Z17flag_tails_kernelIdjN6hipcub8EqualityELj464ELj2EEvPT_Px,comdat
.Lfunc_end28:
	.size	_Z17flag_tails_kernelIdjN6hipcub8EqualityELj464ELj2EEvPT_Px, .Lfunc_end28-_Z17flag_tails_kernelIdjN6hipcub8EqualityELj464ELj2EEvPT_Px
                                        ; -- End function
	.set _Z17flag_tails_kernelIdjN6hipcub8EqualityELj464ELj2EEvPT_Px.num_vgpr, 10
	.set _Z17flag_tails_kernelIdjN6hipcub8EqualityELj464ELj2EEvPT_Px.num_agpr, 0
	.set _Z17flag_tails_kernelIdjN6hipcub8EqualityELj464ELj2EEvPT_Px.numbered_sgpr, 12
	.set _Z17flag_tails_kernelIdjN6hipcub8EqualityELj464ELj2EEvPT_Px.num_named_barrier, 0
	.set _Z17flag_tails_kernelIdjN6hipcub8EqualityELj464ELj2EEvPT_Px.private_seg_size, 0
	.set _Z17flag_tails_kernelIdjN6hipcub8EqualityELj464ELj2EEvPT_Px.uses_vcc, 1
	.set _Z17flag_tails_kernelIdjN6hipcub8EqualityELj464ELj2EEvPT_Px.uses_flat_scratch, 0
	.set _Z17flag_tails_kernelIdjN6hipcub8EqualityELj464ELj2EEvPT_Px.has_dyn_sized_stack, 0
	.set _Z17flag_tails_kernelIdjN6hipcub8EqualityELj464ELj2EEvPT_Px.has_recursion, 0
	.set _Z17flag_tails_kernelIdjN6hipcub8EqualityELj464ELj2EEvPT_Px.has_indirect_call, 0
	.section	.AMDGPU.csdata,"",@progbits
; Kernel info:
; codeLenInByte = 328
; TotalNumSgprs: 14
; NumVgprs: 10
; ScratchSize: 0
; MemoryBound: 0
; FloatMode: 240
; IeeeMode: 1
; LDSByteSize: 7424 bytes/workgroup (compile time only)
; SGPRBlocks: 0
; VGPRBlocks: 1
; NumSGPRsForWavesPerEU: 14
; NumVGPRsForWavesPerEU: 10
; Occupancy: 15
; WaveLimiterHint : 0
; COMPUTE_PGM_RSRC2:SCRATCH_EN: 0
; COMPUTE_PGM_RSRC2:USER_SGPR: 6
; COMPUTE_PGM_RSRC2:TRAP_HANDLER: 0
; COMPUTE_PGM_RSRC2:TGID_X_EN: 1
; COMPUTE_PGM_RSRC2:TGID_Y_EN: 0
; COMPUTE_PGM_RSRC2:TGID_Z_EN: 0
; COMPUTE_PGM_RSRC2:TIDIG_COMP_CNT: 0
	.section	.text._Z17flag_tails_kernelIdi15custom_flag_op2IdELj33ELj5EEvPT_Px,"axG",@progbits,_Z17flag_tails_kernelIdi15custom_flag_op2IdELj33ELj5EEvPT_Px,comdat
	.protected	_Z17flag_tails_kernelIdi15custom_flag_op2IdELj33ELj5EEvPT_Px ; -- Begin function _Z17flag_tails_kernelIdi15custom_flag_op2IdELj33ELj5EEvPT_Px
	.globl	_Z17flag_tails_kernelIdi15custom_flag_op2IdELj33ELj5EEvPT_Px
	.p2align	8
	.type	_Z17flag_tails_kernelIdi15custom_flag_op2IdELj33ELj5EEvPT_Px,@function
_Z17flag_tails_kernelIdi15custom_flag_op2IdELj33ELj5EEvPT_Px: ; @_Z17flag_tails_kernelIdi15custom_flag_op2IdELj33ELj5EEvPT_Px
; %bb.0:
	s_load_dwordx4 s[8:11], s[4:5], 0x0
	v_mul_u32_u24_e32 v1, 5, v0
	s_mov_b32 s15, 0
	s_mul_i32 s14, s6, 0xa5
	s_lshl_b64 s[12:13], s[14:15], 3
	v_lshlrev_b32_e32 v22, 3, v1
	s_waitcnt lgkmcnt(0)
	s_add_u32 s0, s8, s12
	s_addc_u32 s1, s9, s13
	s_bitcmp1_b32 s6, 0
	s_clause 0x2
	global_load_dwordx4 v[1:4], v22, s[0:1]
	global_load_dwordx4 v[5:8], v22, s[0:1] offset:16
	global_load_dwordx2 v[10:11], v22, s[0:1] offset:32
	s_cselect_b32 s4, -1, 0
	s_and_b32 vcc_lo, exec_lo, s4
	v_cmp_ne_u32_e64 s4, 32, v0
	s_waitcnt vmcnt(2)
	v_add_f64 v[18:19], v[1:2], -v[3:4]
	s_waitcnt vmcnt(1)
	v_add_f64 v[16:17], v[3:4], -v[5:6]
	v_add_f64 v[14:15], v[5:6], -v[7:8]
	s_waitcnt vmcnt(0)
	v_add_f64 v[12:13], v[7:8], -v[10:11]
	v_lshlrev_b32_e32 v6, 3, v0
	v_cmp_lt_f64_e64 s0, 0x40140000, v[18:19]
	v_cmp_lt_f64_e64 s1, 0x40140000, v[16:17]
	;; [unrolled: 1-line block ×4, first 2 shown]
	s_cbranch_vccz .LBB29_4
; %bb.1:
	v_mov_b32_e32 v20, 1
	ds_write_b64 v6, v[1:2] offset:264
	s_waitcnt lgkmcnt(0)
	s_barrier
	buffer_gl0_inv
	s_and_saveexec_b32 s5, s4
	s_cbranch_execz .LBB29_3
; %bb.2:
	ds_read_b64 v[3:4], v6 offset:272
	s_waitcnt lgkmcnt(0)
	v_add_f64 v[3:4], v[10:11], -v[3:4]
	v_cmp_lt_f64_e32 vcc_lo, 0x40140000, v[3:4]
	v_cndmask_b32_e64 v20, 0, 1, vcc_lo
.LBB29_3:
	s_or_b32 exec_lo, exec_lo, s5
	v_cndmask_b32_e64 v3, 0, 1, s0
	v_cndmask_b32_e64 v5, 0, 1, s1
	;; [unrolled: 1-line block ×4, first 2 shown]
	s_cbranch_execz .LBB29_5
	s_branch .LBB29_8
.LBB29_4:
                                        ; implicit-def: $vgpr20
                                        ; implicit-def: $vgpr9
                                        ; implicit-def: $vgpr5
.LBB29_5:
	s_add_i32 s0, s14, 0xa5
	s_mov_b32 s1, 0
	ds_write_b64 v6, v[1:2] offset:264
	s_lshl_b64 s[0:1], s[0:1], 3
	s_add_u32 s0, s8, s0
	s_addc_u32 s1, s9, s1
	s_load_dwordx2 s[0:1], s[0:1], 0x0
	s_waitcnt lgkmcnt(0)
	s_barrier
	buffer_gl0_inv
	v_mov_b32_e32 v4, s1
	v_mov_b32_e32 v3, s0
	s_mov_b32 s0, exec_lo
	v_cmpx_ne_u32_e32 32, v0
; %bb.6:
	ds_read_b64 v[3:4], v6 offset:272
; %bb.7:
	s_or_b32 exec_lo, exec_lo, s0
	v_cmp_lt_f64_e32 vcc_lo, 0x40140000, v[18:19]
	s_waitcnt lgkmcnt(0)
	v_add_f64 v[0:1], v[10:11], -v[3:4]
	v_cndmask_b32_e64 v3, 0, 1, vcc_lo
	v_cmp_lt_f64_e32 vcc_lo, 0x40140000, v[16:17]
	v_cndmask_b32_e64 v5, 0, 1, vcc_lo
	v_cmp_lt_f64_e32 vcc_lo, 0x40140000, v[14:15]
	;; [unrolled: 2-line block ×4, first 2 shown]
	v_cndmask_b32_e64 v20, 0, 1, vcc_lo
.LBB29_8:
	v_ashrrev_i32_e32 v4, 31, v3
	v_ashrrev_i32_e32 v6, 31, v5
	;; [unrolled: 1-line block ×4, first 2 shown]
	s_add_u32 s0, s10, s12
	v_ashrrev_i32_e32 v21, 31, v20
	s_addc_u32 s1, s11, s13
	global_store_dwordx4 v22, v[3:6], s[0:1]
	global_store_dwordx4 v22, v[7:10], s[0:1] offset:16
	global_store_dwordx2 v22, v[20:21], s[0:1] offset:32
	s_endpgm
	.section	.rodata,"a",@progbits
	.p2align	6, 0x0
	.amdhsa_kernel _Z17flag_tails_kernelIdi15custom_flag_op2IdELj33ELj5EEvPT_Px
		.amdhsa_group_segment_fixed_size 528
		.amdhsa_private_segment_fixed_size 0
		.amdhsa_kernarg_size 16
		.amdhsa_user_sgpr_count 6
		.amdhsa_user_sgpr_private_segment_buffer 1
		.amdhsa_user_sgpr_dispatch_ptr 0
		.amdhsa_user_sgpr_queue_ptr 0
		.amdhsa_user_sgpr_kernarg_segment_ptr 1
		.amdhsa_user_sgpr_dispatch_id 0
		.amdhsa_user_sgpr_flat_scratch_init 0
		.amdhsa_user_sgpr_private_segment_size 0
		.amdhsa_wavefront_size32 1
		.amdhsa_uses_dynamic_stack 0
		.amdhsa_system_sgpr_private_segment_wavefront_offset 0
		.amdhsa_system_sgpr_workgroup_id_x 1
		.amdhsa_system_sgpr_workgroup_id_y 0
		.amdhsa_system_sgpr_workgroup_id_z 0
		.amdhsa_system_sgpr_workgroup_info 0
		.amdhsa_system_vgpr_workitem_id 0
		.amdhsa_next_free_vgpr 23
		.amdhsa_next_free_sgpr 16
		.amdhsa_reserve_vcc 1
		.amdhsa_reserve_flat_scratch 0
		.amdhsa_float_round_mode_32 0
		.amdhsa_float_round_mode_16_64 0
		.amdhsa_float_denorm_mode_32 3
		.amdhsa_float_denorm_mode_16_64 3
		.amdhsa_dx10_clamp 1
		.amdhsa_ieee_mode 1
		.amdhsa_fp16_overflow 0
		.amdhsa_workgroup_processor_mode 1
		.amdhsa_memory_ordered 1
		.amdhsa_forward_progress 1
		.amdhsa_shared_vgpr_count 0
		.amdhsa_exception_fp_ieee_invalid_op 0
		.amdhsa_exception_fp_denorm_src 0
		.amdhsa_exception_fp_ieee_div_zero 0
		.amdhsa_exception_fp_ieee_overflow 0
		.amdhsa_exception_fp_ieee_underflow 0
		.amdhsa_exception_fp_ieee_inexact 0
		.amdhsa_exception_int_div_zero 0
	.end_amdhsa_kernel
	.section	.text._Z17flag_tails_kernelIdi15custom_flag_op2IdELj33ELj5EEvPT_Px,"axG",@progbits,_Z17flag_tails_kernelIdi15custom_flag_op2IdELj33ELj5EEvPT_Px,comdat
.Lfunc_end29:
	.size	_Z17flag_tails_kernelIdi15custom_flag_op2IdELj33ELj5EEvPT_Px, .Lfunc_end29-_Z17flag_tails_kernelIdi15custom_flag_op2IdELj33ELj5EEvPT_Px
                                        ; -- End function
	.set _Z17flag_tails_kernelIdi15custom_flag_op2IdELj33ELj5EEvPT_Px.num_vgpr, 23
	.set _Z17flag_tails_kernelIdi15custom_flag_op2IdELj33ELj5EEvPT_Px.num_agpr, 0
	.set _Z17flag_tails_kernelIdi15custom_flag_op2IdELj33ELj5EEvPT_Px.numbered_sgpr, 16
	.set _Z17flag_tails_kernelIdi15custom_flag_op2IdELj33ELj5EEvPT_Px.num_named_barrier, 0
	.set _Z17flag_tails_kernelIdi15custom_flag_op2IdELj33ELj5EEvPT_Px.private_seg_size, 0
	.set _Z17flag_tails_kernelIdi15custom_flag_op2IdELj33ELj5EEvPT_Px.uses_vcc, 1
	.set _Z17flag_tails_kernelIdi15custom_flag_op2IdELj33ELj5EEvPT_Px.uses_flat_scratch, 0
	.set _Z17flag_tails_kernelIdi15custom_flag_op2IdELj33ELj5EEvPT_Px.has_dyn_sized_stack, 0
	.set _Z17flag_tails_kernelIdi15custom_flag_op2IdELj33ELj5EEvPT_Px.has_recursion, 0
	.set _Z17flag_tails_kernelIdi15custom_flag_op2IdELj33ELj5EEvPT_Px.has_indirect_call, 0
	.section	.AMDGPU.csdata,"",@progbits
; Kernel info:
; codeLenInByte = 540
; TotalNumSgprs: 18
; NumVgprs: 23
; ScratchSize: 0
; MemoryBound: 0
; FloatMode: 240
; IeeeMode: 1
; LDSByteSize: 528 bytes/workgroup (compile time only)
; SGPRBlocks: 0
; VGPRBlocks: 2
; NumSGPRsForWavesPerEU: 18
; NumVGPRsForWavesPerEU: 23
; Occupancy: 16
; WaveLimiterHint : 0
; COMPUTE_PGM_RSRC2:SCRATCH_EN: 0
; COMPUTE_PGM_RSRC2:USER_SGPR: 6
; COMPUTE_PGM_RSRC2:TRAP_HANDLER: 0
; COMPUTE_PGM_RSRC2:TGID_X_EN: 1
; COMPUTE_PGM_RSRC2:TGID_Y_EN: 0
; COMPUTE_PGM_RSRC2:TGID_Z_EN: 0
; COMPUTE_PGM_RSRC2:TIDIG_COMP_CNT: 0
	.section	.text._Z17flag_tails_kernelIssN6hipcub8EqualityELj512ELj8EEvPT_Px,"axG",@progbits,_Z17flag_tails_kernelIssN6hipcub8EqualityELj512ELj8EEvPT_Px,comdat
	.protected	_Z17flag_tails_kernelIssN6hipcub8EqualityELj512ELj8EEvPT_Px ; -- Begin function _Z17flag_tails_kernelIssN6hipcub8EqualityELj512ELj8EEvPT_Px
	.globl	_Z17flag_tails_kernelIssN6hipcub8EqualityELj512ELj8EEvPT_Px
	.p2align	8
	.type	_Z17flag_tails_kernelIssN6hipcub8EqualityELj512ELj8EEvPT_Px,@function
_Z17flag_tails_kernelIssN6hipcub8EqualityELj512ELj8EEvPT_Px: ; @_Z17flag_tails_kernelIssN6hipcub8EqualityELj512ELj8EEvPT_Px
; %bb.0:
	s_load_dwordx4 s[8:11], s[4:5], 0x0
	s_mov_b32 s3, 0
	s_lshl_b32 s2, s6, 12
	v_lshlrev_b32_e32 v4, 4, v0
	s_lshl_b64 s[0:1], s[2:3], 1
	v_lshlrev_b32_e32 v6, 1, v0
	s_waitcnt lgkmcnt(0)
	s_add_u32 s0, s8, s0
	s_addc_u32 s1, s9, s1
	s_bitcmp1_b32 s6, 0
	s_clause 0x3
	global_load_dword v5, v4, s[0:1]
	global_load_ushort v3, v4, s[0:1] offset:14
	global_load_dwordx2 v[1:2], v4, s[0:1] offset:2
	global_load_dword v4, v4, s[0:1] offset:10
	s_cselect_b32 s0, -1, 0
	s_and_b32 vcc_lo, exec_lo, s0
	v_cmp_ne_u32_e64 s0, 0x1ff, v0
	s_waitcnt vmcnt(1)
	v_cmp_eq_u16_sdwa s6, v5, v1 src0_sel:WORD_1 src1_sel:WORD_1
	v_cmp_eq_u16_sdwa s5, v2, v2 src0_sel:DWORD src1_sel:WORD_1
	s_waitcnt vmcnt(0)
	v_cmp_eq_u16_sdwa s1, v4, v4 src0_sel:DWORD src1_sel:WORD_1
	v_cmp_eq_u16_sdwa s4, v4, v3 src0_sel:WORD_1 src1_sel:DWORD
	s_cbranch_vccz .LBB30_4
; %bb.1:
	v_cndmask_b32_e64 v7, 0, 1, s6
	v_cmp_eq_u16_sdwa s6, v5, v5 src0_sel:WORD_1 src1_sel:DWORD
	v_cndmask_b32_e64 v10, 0, 1, s5
	v_cmp_eq_u16_sdwa s5, v4, v2 src0_sel:DWORD src1_sel:WORD_1
	v_cndmask_b32_e64 v13, 0, 1, s1
	v_cndmask_b32_e64 v14, 0, 1, s4
	;; [unrolled: 1-line block ×3, first 2 shown]
	v_cmp_eq_u16_sdwa s6, v2, v1 src0_sel:DWORD src1_sel:WORD_1
	v_cndmask_b32_e64 v12, 0, 1, s5
	ds_write_b16 v6, v5 offset:1024
	s_waitcnt lgkmcnt(0)
	v_perm_b32 v11, v7, v8, 0x5040100
	v_cndmask_b32_e64 v9, 0, 1, s6
	v_perm_b32 v8, v13, v12, 0x5040100
	v_perm_b32 v7, 1, v14, 0x5040100
	s_barrier
	buffer_gl0_inv
	v_perm_b32 v9, v10, v9, 0x5040100
	s_and_saveexec_b32 s1, s0
	s_cbranch_execz .LBB30_3
; %bb.2:
	ds_read_u16 v10, v6 offset:1026
	s_waitcnt lgkmcnt(0)
	v_cmp_eq_u16_e32 vcc_lo, v3, v10
	v_cndmask_b32_e64 v10, 0, 1, vcc_lo
	v_perm_b32 v7, v10, v7, 0x5040100
.LBB30_3:
	s_or_b32 exec_lo, exec_lo, s1
	v_lshlrev_b32_e32 v10, 3, v0
	s_cbranch_execz .LBB30_5
	s_branch .LBB30_8
.LBB30_4:
                                        ; implicit-def: $vgpr7
                                        ; implicit-def: $vgpr8
                                        ; implicit-def: $vgpr9
                                        ; implicit-def: $vgpr11
	v_lshlrev_b32_e32 v10, 3, v0
.LBB30_5:
	s_or_b32 s0, s2, 0x1000
	s_mov_b32 s1, 0
	v_mov_b32_e32 v7, 0
	s_lshl_b64 s[0:1], s[0:1], 1
	ds_write_b16 v6, v5 offset:1024
	s_add_u32 s0, s8, s0
	s_addc_u32 s1, s9, s1
	global_load_ushort v7, v7, s[0:1]
	s_mov_b32 s0, exec_lo
	s_waitcnt vmcnt(0) lgkmcnt(0)
	s_barrier
	buffer_gl0_inv
	v_cmpx_ne_u32_e32 0x1ff, v0
; %bb.6:
	ds_read_u16 v7, v6 offset:1026
; %bb.7:
	s_or_b32 exec_lo, exec_lo, s0
	v_cmp_eq_u16_sdwa s0, v5, v1 src0_sel:WORD_1 src1_sel:WORD_1
	v_cmp_eq_u16_e32 vcc_lo, v5, v1
	v_cndmask_b32_e64 v0, 0, 1, s0
	v_cmp_eq_u16_sdwa s0, v1, v2 src0_sel:WORD_1 src1_sel:DWORD
	v_cndmask_b32_e64 v5, 0, 1, vcc_lo
	s_waitcnt lgkmcnt(0)
	v_cmp_eq_u16_e32 vcc_lo, v3, v7
	v_cndmask_b32_e64 v1, 0, 1, s0
	v_cmp_eq_u16_sdwa s0, v2, v2 src0_sel:DWORD src1_sel:WORD_1
	v_perm_b32 v11, v0, v5, 0x5040100
	v_cndmask_b32_e64 v6, 0, 1, s0
	v_cmp_eq_u16_sdwa s0, v2, v4 src0_sel:WORD_1 src1_sel:DWORD
	v_perm_b32 v9, v6, v1, 0x5040100
	v_cndmask_b32_e64 v2, 0, 1, s0
	v_cmp_eq_u16_sdwa s0, v4, v4 src0_sel:DWORD src1_sel:WORD_1
	v_cndmask_b32_e64 v8, 0, 1, s0
	v_cmp_eq_u16_sdwa s0, v4, v3 src0_sel:WORD_1 src1_sel:DWORD
	v_cndmask_b32_e64 v3, 0, 1, vcc_lo
	v_perm_b32 v8, v8, v2, 0x5040100
	v_cndmask_b32_e64 v4, 0, 1, s0
	v_perm_b32 v7, v3, v4, 0x5040100
.LBB30_8:
	v_lshrrev_b32_e32 v1, 16, v11
	v_lshrrev_b32_e32 v6, 16, v9
	v_bfe_i32 v4, v9, 0, 16
	v_lshrrev_b32_e32 v9, 16, v8
	v_bfe_i32 v0, v11, 0, 16
	v_lshrrev_b32_e32 v11, 16, v7
	v_bfe_i32 v2, v1, 0, 16
	v_bfe_i32 v6, v6, 0, 16
	v_lshlrev_b32_e32 v16, 3, v10
	v_bfe_i32 v8, v8, 0, 16
	v_bfe_i32 v10, v9, 0, 16
	v_bfe_i32 v12, v7, 0, 16
	v_bfe_i32 v14, v11, 0, 16
	s_lshl_b64 s[0:1], s[2:3], 3
	v_ashrrev_i32_e32 v1, 31, v0
	v_ashrrev_i32_e32 v3, 31, v2
	;; [unrolled: 1-line block ×4, first 2 shown]
	s_add_u32 s0, s10, s0
	v_ashrrev_i32_e32 v9, 31, v8
	v_ashrrev_i32_e32 v11, 31, v10
	s_addc_u32 s1, s11, s1
	v_ashrrev_i32_e32 v13, 31, v12
	v_ashrrev_i32_e32 v15, 31, v14
	global_store_dwordx4 v16, v[0:3], s[0:1]
	global_store_dwordx4 v16, v[4:7], s[0:1] offset:16
	global_store_dwordx4 v16, v[8:11], s[0:1] offset:32
	;; [unrolled: 1-line block ×3, first 2 shown]
	s_endpgm
	.section	.rodata,"a",@progbits
	.p2align	6, 0x0
	.amdhsa_kernel _Z17flag_tails_kernelIssN6hipcub8EqualityELj512ELj8EEvPT_Px
		.amdhsa_group_segment_fixed_size 2048
		.amdhsa_private_segment_fixed_size 0
		.amdhsa_kernarg_size 16
		.amdhsa_user_sgpr_count 6
		.amdhsa_user_sgpr_private_segment_buffer 1
		.amdhsa_user_sgpr_dispatch_ptr 0
		.amdhsa_user_sgpr_queue_ptr 0
		.amdhsa_user_sgpr_kernarg_segment_ptr 1
		.amdhsa_user_sgpr_dispatch_id 0
		.amdhsa_user_sgpr_flat_scratch_init 0
		.amdhsa_user_sgpr_private_segment_size 0
		.amdhsa_wavefront_size32 1
		.amdhsa_uses_dynamic_stack 0
		.amdhsa_system_sgpr_private_segment_wavefront_offset 0
		.amdhsa_system_sgpr_workgroup_id_x 1
		.amdhsa_system_sgpr_workgroup_id_y 0
		.amdhsa_system_sgpr_workgroup_id_z 0
		.amdhsa_system_sgpr_workgroup_info 0
		.amdhsa_system_vgpr_workitem_id 0
		.amdhsa_next_free_vgpr 17
		.amdhsa_next_free_sgpr 12
		.amdhsa_reserve_vcc 1
		.amdhsa_reserve_flat_scratch 0
		.amdhsa_float_round_mode_32 0
		.amdhsa_float_round_mode_16_64 0
		.amdhsa_float_denorm_mode_32 3
		.amdhsa_float_denorm_mode_16_64 3
		.amdhsa_dx10_clamp 1
		.amdhsa_ieee_mode 1
		.amdhsa_fp16_overflow 0
		.amdhsa_workgroup_processor_mode 1
		.amdhsa_memory_ordered 1
		.amdhsa_forward_progress 1
		.amdhsa_shared_vgpr_count 0
		.amdhsa_exception_fp_ieee_invalid_op 0
		.amdhsa_exception_fp_denorm_src 0
		.amdhsa_exception_fp_ieee_div_zero 0
		.amdhsa_exception_fp_ieee_overflow 0
		.amdhsa_exception_fp_ieee_underflow 0
		.amdhsa_exception_fp_ieee_inexact 0
		.amdhsa_exception_int_div_zero 0
	.end_amdhsa_kernel
	.section	.text._Z17flag_tails_kernelIssN6hipcub8EqualityELj512ELj8EEvPT_Px,"axG",@progbits,_Z17flag_tails_kernelIssN6hipcub8EqualityELj512ELj8EEvPT_Px,comdat
.Lfunc_end30:
	.size	_Z17flag_tails_kernelIssN6hipcub8EqualityELj512ELj8EEvPT_Px, .Lfunc_end30-_Z17flag_tails_kernelIssN6hipcub8EqualityELj512ELj8EEvPT_Px
                                        ; -- End function
	.set _Z17flag_tails_kernelIssN6hipcub8EqualityELj512ELj8EEvPT_Px.num_vgpr, 17
	.set _Z17flag_tails_kernelIssN6hipcub8EqualityELj512ELj8EEvPT_Px.num_agpr, 0
	.set _Z17flag_tails_kernelIssN6hipcub8EqualityELj512ELj8EEvPT_Px.numbered_sgpr, 12
	.set _Z17flag_tails_kernelIssN6hipcub8EqualityELj512ELj8EEvPT_Px.num_named_barrier, 0
	.set _Z17flag_tails_kernelIssN6hipcub8EqualityELj512ELj8EEvPT_Px.private_seg_size, 0
	.set _Z17flag_tails_kernelIssN6hipcub8EqualityELj512ELj8EEvPT_Px.uses_vcc, 1
	.set _Z17flag_tails_kernelIssN6hipcub8EqualityELj512ELj8EEvPT_Px.uses_flat_scratch, 0
	.set _Z17flag_tails_kernelIssN6hipcub8EqualityELj512ELj8EEvPT_Px.has_dyn_sized_stack, 0
	.set _Z17flag_tails_kernelIssN6hipcub8EqualityELj512ELj8EEvPT_Px.has_recursion, 0
	.set _Z17flag_tails_kernelIssN6hipcub8EqualityELj512ELj8EEvPT_Px.has_indirect_call, 0
	.section	.AMDGPU.csdata,"",@progbits
; Kernel info:
; codeLenInByte = 780
; TotalNumSgprs: 14
; NumVgprs: 17
; ScratchSize: 0
; MemoryBound: 0
; FloatMode: 240
; IeeeMode: 1
; LDSByteSize: 2048 bytes/workgroup (compile time only)
; SGPRBlocks: 0
; VGPRBlocks: 2
; NumSGPRsForWavesPerEU: 14
; NumVGPRsForWavesPerEU: 17
; Occupancy: 16
; WaveLimiterHint : 0
; COMPUTE_PGM_RSRC2:SCRATCH_EN: 0
; COMPUTE_PGM_RSRC2:USER_SGPR: 6
; COMPUTE_PGM_RSRC2:TRAP_HANDLER: 0
; COMPUTE_PGM_RSRC2:TGID_X_EN: 1
; COMPUTE_PGM_RSRC2:TGID_Y_EN: 0
; COMPUTE_PGM_RSRC2:TGID_Z_EN: 0
; COMPUTE_PGM_RSRC2:TIDIG_COMP_CNT: 0
	.section	.text._Z17flag_tails_kernelIth15custom_flag_op2ItELj256ELj7EEvPT_Px,"axG",@progbits,_Z17flag_tails_kernelIth15custom_flag_op2ItELj256ELj7EEvPT_Px,comdat
	.protected	_Z17flag_tails_kernelIth15custom_flag_op2ItELj256ELj7EEvPT_Px ; -- Begin function _Z17flag_tails_kernelIth15custom_flag_op2ItELj256ELj7EEvPT_Px
	.globl	_Z17flag_tails_kernelIth15custom_flag_op2ItELj256ELj7EEvPT_Px
	.p2align	8
	.type	_Z17flag_tails_kernelIth15custom_flag_op2ItELj256ELj7EEvPT_Px,@function
_Z17flag_tails_kernelIth15custom_flag_op2ItELj256ELj7EEvPT_Px: ; @_Z17flag_tails_kernelIth15custom_flag_op2ItELj256ELj7EEvPT_Px
; %bb.0:
	s_load_dwordx4 s[8:11], s[4:5], 0x0
	v_mul_u32_u24_e32 v6, 7, v0
	s_mov_b32 s3, 0
	s_mul_i32 s2, s6, 0x700
	v_lshlrev_b32_e32 v10, 1, v0
	s_lshl_b64 s[0:1], s[2:3], 1
	v_lshlrev_b32_e32 v1, 1, v6
	s_waitcnt lgkmcnt(0)
	s_add_u32 s0, s8, s0
	s_addc_u32 s1, s9, s1
	s_bitcmp1_b32 s6, 0
	s_clause 0x1
	global_load_dwordx2 v[4:5], v1, s[0:1]
	global_load_dwordx3 v[1:3], v1, s[0:1] offset:2
	s_cselect_b32 s0, -1, 0
	s_and_b32 vcc_lo, exec_lo, s0
	v_cmp_ne_u32_e64 s0, 0xff, v0
	s_waitcnt vmcnt(0)
	v_sub_nc_u32_sdwa v9, v5, v2 dst_sel:DWORD dst_unused:UNUSED_PAD src0_sel:WORD_1 src1_sel:WORD_1
	v_sub_nc_u32_sdwa v8, v3, v3 dst_sel:DWORD dst_unused:UNUSED_PAD src0_sel:WORD_0 src1_sel:WORD_1
	v_sub_nc_u32_sdwa v7, v2, v3 dst_sel:DWORD dst_unused:UNUSED_PAD src0_sel:WORD_1 src1_sel:WORD_0
	s_cbranch_vccz .LBB31_4
; %bb.1:
	v_sub_nc_u32_sdwa v11, v4, v5 dst_sel:DWORD dst_unused:UNUSED_PAD src0_sel:WORD_1 src1_sel:WORD_0
	v_cmp_lt_i32_e32 vcc_lo, 5, v9
	v_sub_nc_u32_sdwa v14, v5, v5 dst_sel:DWORD dst_unused:UNUSED_PAD src0_sel:WORD_0 src1_sel:WORD_1
	v_sub_nc_u32_sdwa v13, v4, v4 dst_sel:DWORD dst_unused:UNUSED_PAD src0_sel:WORD_0 src1_sel:WORD_1
	v_mov_b32_e32 v15, 8
	ds_write_b16 v10, v4 offset:512
	v_cndmask_b32_e64 v12, 0, 1, vcc_lo
	v_cmp_lt_i32_e32 vcc_lo, 5, v11
	s_waitcnt lgkmcnt(0)
	s_barrier
	buffer_gl0_inv
	v_lshlrev_b16 v12, 8, v12
	v_cndmask_b32_e64 v11, 0, 1, vcc_lo
	v_cmp_lt_i32_e32 vcc_lo, 5, v8
	v_lshrrev_b32_sdwa v12, v15, v12 dst_sel:BYTE_1 dst_unused:UNUSED_PAD src0_sel:DWORD src1_sel:DWORD
	v_lshlrev_b16 v16, 8, v11
	v_cndmask_b32_e64 v11, 0, 1, vcc_lo
	v_cmp_lt_i32_e32 vcc_lo, 5, v14
	v_lshrrev_b32_sdwa v17, v15, v16 dst_sel:BYTE_1 dst_unused:UNUSED_PAD src0_sel:DWORD src1_sel:DWORD
	v_lshlrev_b16 v16, 8, v11
	v_cndmask_b32_e64 v14, 0, 1, vcc_lo
	v_cmp_lt_i32_e32 vcc_lo, 5, v13
	v_or_b32_sdwa v14, v14, v12 dst_sel:WORD_1 dst_unused:UNUSED_PAD src0_sel:DWORD src1_sel:DWORD
	v_cndmask_b32_e64 v13, 0, 1, vcc_lo
	v_cmp_lt_i32_e32 vcc_lo, 5, v7
	v_or_b32_e32 v13, v13, v17
	v_cndmask_b32_e64 v18, 0, 1, vcc_lo
	v_or_b32_sdwa v13, v13, v14 dst_sel:DWORD dst_unused:UNUSED_PAD src0_sel:WORD_0 src1_sel:DWORD
	v_or_b32_e32 v12, v18, v16
	v_mov_b32_e32 v14, 1
	s_and_saveexec_b32 s1, s0
	s_cbranch_execz .LBB31_3
; %bb.2:
	ds_read_u16 v11, v10 offset:514
	v_mov_b32_e32 v14, 0xffff
	v_lshrrev_b32_sdwa v15, v15, v16 dst_sel:BYTE_1 dst_unused:UNUSED_PAD src0_sel:DWORD src1_sel:DWORD
	v_and_b32_e32 v12, 1, v12
	v_mov_b32_e32 v16, 0x10000
	v_perm_b32 v13, v13, v13, 0x3020104
	v_and_b32_sdwa v14, v14, v3 dst_sel:DWORD dst_unused:UNUSED_PAD src0_sel:DWORD src1_sel:WORD_1
	v_or_b32_e32 v12, v12, v15
	v_or_b32_sdwa v12, v12, v16 dst_sel:DWORD dst_unused:UNUSED_PAD src0_sel:WORD_0 src1_sel:DWORD
	s_waitcnt lgkmcnt(0)
	v_sub_nc_u32_e32 v11, v14, v11
	v_cmp_lt_i32_e32 vcc_lo, 5, v11
	v_lshrrev_b32_e32 v11, 8, v12
	v_cndmask_b32_e64 v14, 0, 1, vcc_lo
.LBB31_3:
	s_or_b32 exec_lo, exec_lo, s1
	s_cbranch_execz .LBB31_5
	s_branch .LBB31_8
.LBB31_4:
                                        ; implicit-def: $vgpr14
                                        ; implicit-def: $vgpr11
                                        ; implicit-def: $vgpr12
                                        ; implicit-def: $vgpr13
.LBB31_5:
	s_add_i32 s0, s2, 0x700
	s_mov_b32 s1, 0
	v_mov_b32_e32 v11, 0
	s_lshl_b64 s[0:1], s[0:1], 1
	ds_write_b16 v10, v4 offset:512
	s_add_u32 s0, s8, s0
	s_addc_u32 s1, s9, s1
	global_load_ushort v12, v11, s[0:1]
	s_mov_b32 s0, exec_lo
	s_waitcnt vmcnt(0) lgkmcnt(0)
	s_barrier
	buffer_gl0_inv
	v_cmpx_ne_u32_e32 0xff, v0
; %bb.6:
	ds_read_u16 v12, v10 offset:514
; %bb.7:
	s_or_b32 exec_lo, exec_lo, s0
	v_sub_nc_u32_sdwa v0, v4, v1 dst_sel:DWORD dst_unused:UNUSED_PAD src0_sel:WORD_1 src1_sel:WORD_1
	v_cmp_lt_i32_e32 vcc_lo, 5, v9
	v_sub_nc_u32_sdwa v1, v4, v1 dst_sel:DWORD dst_unused:UNUSED_PAD src0_sel:WORD_0 src1_sel:WORD_0
	v_mov_b32_e32 v9, 0xffff
	v_sub_nc_u32_sdwa v2, v5, v2 dst_sel:DWORD dst_unused:UNUSED_PAD src0_sel:WORD_0 src1_sel:WORD_0
	v_cndmask_b32_e64 v4, 0, 1, vcc_lo
	v_cmp_lt_i32_e32 vcc_lo, 5, v0
	v_and_b32_sdwa v3, v9, v3 dst_sel:DWORD dst_unused:UNUSED_PAD src0_sel:DWORD src1_sel:WORD_1
	v_lshlrev_b16 v4, 8, v4
	v_cndmask_b32_e64 v0, 0, 1, vcc_lo
	v_cmp_lt_i32_e32 vcc_lo, 5, v8
	v_mov_b32_e32 v8, 8
	s_waitcnt lgkmcnt(0)
	v_sub_nc_u32_sdwa v3, v3, v12 dst_sel:DWORD dst_unused:UNUSED_PAD src0_sel:DWORD src1_sel:WORD_0
	v_lshlrev_b16 v0, 8, v0
	v_cndmask_b32_e64 v11, 0, 1, vcc_lo
	v_cmp_lt_i32_e32 vcc_lo, 5, v1
	v_lshrrev_b32_sdwa v0, v8, v0 dst_sel:BYTE_1 dst_unused:UNUSED_PAD src0_sel:DWORD src1_sel:DWORD
	v_lshlrev_b16 v5, 8, v11
	v_cndmask_b32_e64 v1, 0, 1, vcc_lo
	v_cmp_lt_i32_e32 vcc_lo, 5, v2
	v_or_b32_e32 v0, v1, v0
	v_cndmask_b32_e64 v2, 0, 1, vcc_lo
	v_cmp_lt_i32_e32 vcc_lo, 5, v7
	v_or_b32_sdwa v1, v2, v4 dst_sel:WORD_1 dst_unused:UNUSED_PAD src0_sel:DWORD src1_sel:DWORD
	v_cndmask_b32_e64 v7, 0, 1, vcc_lo
	v_cmp_lt_i32_e32 vcc_lo, 5, v3
	v_or_b32_sdwa v13, v0, v1 dst_sel:DWORD dst_unused:UNUSED_PAD src0_sel:WORD_0 src1_sel:DWORD
	v_or_b32_e32 v12, v7, v5
	v_cndmask_b32_e64 v14, 0, 1, vcc_lo
.LBB31_8:
	v_mov_b32_e32 v1, 0
	s_lshl_b64 s[0:1], s[2:3], 3
	v_lshlrev_b32_e32 v4, 3, v6
	v_and_b32_e32 v0, 0xff, v13
	v_bfe_u32 v2, v13, 8, 8
	v_mov_b32_e32 v3, v1
	s_add_u32 s0, s10, s0
	s_addc_u32 s1, s11, s1
	global_store_dwordx4 v4, v[0:3], s[0:1]
	v_lshrrev_b32_e32 v2, 24, v13
	v_bfe_u32 v0, v13, 16, 8
	global_store_dwordx4 v4, v[0:3], s[0:1] offset:16
	v_and_b32_e32 v0, 0xff, v12
	v_and_b32_e32 v2, 0xff, v11
	global_store_dwordx4 v4, v[0:3], s[0:1] offset:32
	v_and_b32_e32 v0, 0xff, v14
	global_store_dwordx2 v4, v[0:1], s[0:1] offset:48
	s_endpgm
	.section	.rodata,"a",@progbits
	.p2align	6, 0x0
	.amdhsa_kernel _Z17flag_tails_kernelIth15custom_flag_op2ItELj256ELj7EEvPT_Px
		.amdhsa_group_segment_fixed_size 1024
		.amdhsa_private_segment_fixed_size 0
		.amdhsa_kernarg_size 16
		.amdhsa_user_sgpr_count 6
		.amdhsa_user_sgpr_private_segment_buffer 1
		.amdhsa_user_sgpr_dispatch_ptr 0
		.amdhsa_user_sgpr_queue_ptr 0
		.amdhsa_user_sgpr_kernarg_segment_ptr 1
		.amdhsa_user_sgpr_dispatch_id 0
		.amdhsa_user_sgpr_flat_scratch_init 0
		.amdhsa_user_sgpr_private_segment_size 0
		.amdhsa_wavefront_size32 1
		.amdhsa_uses_dynamic_stack 0
		.amdhsa_system_sgpr_private_segment_wavefront_offset 0
		.amdhsa_system_sgpr_workgroup_id_x 1
		.amdhsa_system_sgpr_workgroup_id_y 0
		.amdhsa_system_sgpr_workgroup_id_z 0
		.amdhsa_system_sgpr_workgroup_info 0
		.amdhsa_system_vgpr_workitem_id 0
		.amdhsa_next_free_vgpr 19
		.amdhsa_next_free_sgpr 12
		.amdhsa_reserve_vcc 1
		.amdhsa_reserve_flat_scratch 0
		.amdhsa_float_round_mode_32 0
		.amdhsa_float_round_mode_16_64 0
		.amdhsa_float_denorm_mode_32 3
		.amdhsa_float_denorm_mode_16_64 3
		.amdhsa_dx10_clamp 1
		.amdhsa_ieee_mode 1
		.amdhsa_fp16_overflow 0
		.amdhsa_workgroup_processor_mode 1
		.amdhsa_memory_ordered 1
		.amdhsa_forward_progress 1
		.amdhsa_shared_vgpr_count 0
		.amdhsa_exception_fp_ieee_invalid_op 0
		.amdhsa_exception_fp_denorm_src 0
		.amdhsa_exception_fp_ieee_div_zero 0
		.amdhsa_exception_fp_ieee_overflow 0
		.amdhsa_exception_fp_ieee_underflow 0
		.amdhsa_exception_fp_ieee_inexact 0
		.amdhsa_exception_int_div_zero 0
	.end_amdhsa_kernel
	.section	.text._Z17flag_tails_kernelIth15custom_flag_op2ItELj256ELj7EEvPT_Px,"axG",@progbits,_Z17flag_tails_kernelIth15custom_flag_op2ItELj256ELj7EEvPT_Px,comdat
.Lfunc_end31:
	.size	_Z17flag_tails_kernelIth15custom_flag_op2ItELj256ELj7EEvPT_Px, .Lfunc_end31-_Z17flag_tails_kernelIth15custom_flag_op2ItELj256ELj7EEvPT_Px
                                        ; -- End function
	.set _Z17flag_tails_kernelIth15custom_flag_op2ItELj256ELj7EEvPT_Px.num_vgpr, 19
	.set _Z17flag_tails_kernelIth15custom_flag_op2ItELj256ELj7EEvPT_Px.num_agpr, 0
	.set _Z17flag_tails_kernelIth15custom_flag_op2ItELj256ELj7EEvPT_Px.numbered_sgpr, 12
	.set _Z17flag_tails_kernelIth15custom_flag_op2ItELj256ELj7EEvPT_Px.num_named_barrier, 0
	.set _Z17flag_tails_kernelIth15custom_flag_op2ItELj256ELj7EEvPT_Px.private_seg_size, 0
	.set _Z17flag_tails_kernelIth15custom_flag_op2ItELj256ELj7EEvPT_Px.uses_vcc, 1
	.set _Z17flag_tails_kernelIth15custom_flag_op2ItELj256ELj7EEvPT_Px.uses_flat_scratch, 0
	.set _Z17flag_tails_kernelIth15custom_flag_op2ItELj256ELj7EEvPT_Px.has_dyn_sized_stack, 0
	.set _Z17flag_tails_kernelIth15custom_flag_op2ItELj256ELj7EEvPT_Px.has_recursion, 0
	.set _Z17flag_tails_kernelIth15custom_flag_op2ItELj256ELj7EEvPT_Px.has_indirect_call, 0
	.section	.AMDGPU.csdata,"",@progbits
; Kernel info:
; codeLenInByte = 820
; TotalNumSgprs: 14
; NumVgprs: 19
; ScratchSize: 0
; MemoryBound: 0
; FloatMode: 240
; IeeeMode: 1
; LDSByteSize: 1024 bytes/workgroup (compile time only)
; SGPRBlocks: 0
; VGPRBlocks: 2
; NumSGPRsForWavesPerEU: 14
; NumVGPRsForWavesPerEU: 19
; Occupancy: 16
; WaveLimiterHint : 0
; COMPUTE_PGM_RSRC2:SCRATCH_EN: 0
; COMPUTE_PGM_RSRC2:USER_SGPR: 6
; COMPUTE_PGM_RSRC2:TRAP_HANDLER: 0
; COMPUTE_PGM_RSRC2:TGID_X_EN: 1
; COMPUTE_PGM_RSRC2:TGID_Y_EN: 0
; COMPUTE_PGM_RSRC2:TGID_Z_EN: 0
; COMPUTE_PGM_RSRC2:TIDIG_COMP_CNT: 0
	.section	.text._Z17flag_tails_kernelIisN10test_utils4lessELj128ELj4EEvPT_Px,"axG",@progbits,_Z17flag_tails_kernelIisN10test_utils4lessELj128ELj4EEvPT_Px,comdat
	.protected	_Z17flag_tails_kernelIisN10test_utils4lessELj128ELj4EEvPT_Px ; -- Begin function _Z17flag_tails_kernelIisN10test_utils4lessELj128ELj4EEvPT_Px
	.globl	_Z17flag_tails_kernelIisN10test_utils4lessELj128ELj4EEvPT_Px
	.p2align	8
	.type	_Z17flag_tails_kernelIisN10test_utils4lessELj128ELj4EEvPT_Px,@function
_Z17flag_tails_kernelIisN10test_utils4lessELj128ELj4EEvPT_Px: ; @_Z17flag_tails_kernelIisN10test_utils4lessELj128ELj4EEvPT_Px
; %bb.0:
	s_load_dwordx4 s[8:11], s[4:5], 0x0
	s_mov_b32 s5, 0
	s_lshl_b32 s4, s6, 9
	v_lshlrev_b32_e32 v1, 4, v0
	s_lshl_b64 s[0:1], s[4:5], 2
	v_lshlrev_b32_e32 v6, 2, v0
	s_waitcnt lgkmcnt(0)
	s_add_u32 s0, s8, s0
	s_addc_u32 s1, s9, s1
	s_bitcmp1_b32 s6, 0
	s_clause 0x1
	global_load_dwordx2 v[4:5], v1, s[0:1]
	global_load_dwordx3 v[1:3], v1, s[0:1] offset:4
	s_cselect_b32 s0, -1, 0
	s_and_b32 vcc_lo, exec_lo, s0
	v_cmp_ne_u32_e64 s0, 0x7f, v0
	s_waitcnt vmcnt(0)
	v_cmp_lt_i32_e64 s1, v5, v2
	v_cmp_lt_i32_e64 s2, v2, v3
	s_cbranch_vccz .LBB32_4
; %bb.1:
	v_cmp_lt_i32_e32 vcc_lo, v4, v5
	v_cndmask_b32_e64 v8, 0, 1, s1
	v_cndmask_b32_e64 v9, 0, 1, s2
	ds_write_b32 v6, v4 offset:512
	s_waitcnt lgkmcnt(0)
	v_cndmask_b32_e64 v7, 0, 1, vcc_lo
	s_barrier
	buffer_gl0_inv
	v_perm_b32 v8, v8, v7, 0x5040100
	v_perm_b32 v7, 1, v9, 0x5040100
	s_and_saveexec_b32 s1, s0
	s_cbranch_execz .LBB32_3
; %bb.2:
	ds_read_b32 v9, v6 offset:516
	s_waitcnt lgkmcnt(0)
	v_cmp_lt_i32_e32 vcc_lo, v3, v9
	v_cndmask_b32_e64 v9, 0, 1, vcc_lo
	v_perm_b32 v7, v9, v7, 0x5040100
.LBB32_3:
	s_or_b32 exec_lo, exec_lo, s1
	s_cbranch_execz .LBB32_5
	s_branch .LBB32_8
.LBB32_4:
                                        ; implicit-def: $vgpr7
                                        ; implicit-def: $vgpr8
.LBB32_5:
	s_or_b32 s0, s4, 0x200
	s_mov_b32 s1, 0
	v_cmp_ne_u32_e32 vcc_lo, 0x7f, v0
	s_lshl_b64 s[0:1], s[0:1], 2
	ds_write_b32 v6, v4 offset:512
	s_add_u32 s0, s8, s0
	s_addc_u32 s1, s9, s1
	s_load_dword s0, s[0:1], 0x0
	s_waitcnt lgkmcnt(0)
	s_barrier
	buffer_gl0_inv
	v_mov_b32_e32 v0, s0
	s_and_saveexec_b32 s0, vcc_lo
; %bb.6:
	ds_read_b32 v0, v6 offset:516
; %bb.7:
	s_or_b32 exec_lo, exec_lo, s0
	v_cmp_lt_i32_e32 vcc_lo, v4, v1
	v_cndmask_b32_e64 v1, 0, 1, vcc_lo
	v_cmp_lt_i32_e32 vcc_lo, v5, v2
	v_cndmask_b32_e64 v4, 0, 1, vcc_lo
	v_cmp_lt_i32_e32 vcc_lo, v2, v3
	v_perm_b32 v8, v4, v1, 0x5040100
	v_cndmask_b32_e64 v2, 0, 1, vcc_lo
	s_waitcnt lgkmcnt(0)
	v_cmp_lt_i32_e32 vcc_lo, v3, v0
	v_cndmask_b32_e64 v0, 0, 1, vcc_lo
	v_perm_b32 v7, v0, v2, 0x5040100
.LBB32_8:
	v_lshrrev_b32_e32 v1, 16, v8
	v_lshrrev_b32_e32 v3, 16, v7
	v_bfe_i32 v0, v8, 0, 16
	v_bfe_i32 v5, v7, 0, 16
	s_lshl_b64 s[0:1], s[4:5], 3
	v_bfe_i32 v2, v1, 0, 16
	v_bfe_i32 v7, v3, 0, 16
	v_lshlrev_b32_e32 v4, 3, v6
	v_ashrrev_i32_e32 v1, 31, v0
	v_ashrrev_i32_e32 v6, 31, v5
	;; [unrolled: 1-line block ×4, first 2 shown]
	s_add_u32 s0, s10, s0
	s_addc_u32 s1, s11, s1
	global_store_dwordx4 v4, v[0:3], s[0:1]
	global_store_dwordx4 v4, v[5:8], s[0:1] offset:16
	s_endpgm
	.section	.rodata,"a",@progbits
	.p2align	6, 0x0
	.amdhsa_kernel _Z17flag_tails_kernelIisN10test_utils4lessELj128ELj4EEvPT_Px
		.amdhsa_group_segment_fixed_size 1024
		.amdhsa_private_segment_fixed_size 0
		.amdhsa_kernarg_size 16
		.amdhsa_user_sgpr_count 6
		.amdhsa_user_sgpr_private_segment_buffer 1
		.amdhsa_user_sgpr_dispatch_ptr 0
		.amdhsa_user_sgpr_queue_ptr 0
		.amdhsa_user_sgpr_kernarg_segment_ptr 1
		.amdhsa_user_sgpr_dispatch_id 0
		.amdhsa_user_sgpr_flat_scratch_init 0
		.amdhsa_user_sgpr_private_segment_size 0
		.amdhsa_wavefront_size32 1
		.amdhsa_uses_dynamic_stack 0
		.amdhsa_system_sgpr_private_segment_wavefront_offset 0
		.amdhsa_system_sgpr_workgroup_id_x 1
		.amdhsa_system_sgpr_workgroup_id_y 0
		.amdhsa_system_sgpr_workgroup_id_z 0
		.amdhsa_system_sgpr_workgroup_info 0
		.amdhsa_system_vgpr_workitem_id 0
		.amdhsa_next_free_vgpr 10
		.amdhsa_next_free_sgpr 12
		.amdhsa_reserve_vcc 1
		.amdhsa_reserve_flat_scratch 0
		.amdhsa_float_round_mode_32 0
		.amdhsa_float_round_mode_16_64 0
		.amdhsa_float_denorm_mode_32 3
		.amdhsa_float_denorm_mode_16_64 3
		.amdhsa_dx10_clamp 1
		.amdhsa_ieee_mode 1
		.amdhsa_fp16_overflow 0
		.amdhsa_workgroup_processor_mode 1
		.amdhsa_memory_ordered 1
		.amdhsa_forward_progress 1
		.amdhsa_shared_vgpr_count 0
		.amdhsa_exception_fp_ieee_invalid_op 0
		.amdhsa_exception_fp_denorm_src 0
		.amdhsa_exception_fp_ieee_div_zero 0
		.amdhsa_exception_fp_ieee_overflow 0
		.amdhsa_exception_fp_ieee_underflow 0
		.amdhsa_exception_fp_ieee_inexact 0
		.amdhsa_exception_int_div_zero 0
	.end_amdhsa_kernel
	.section	.text._Z17flag_tails_kernelIisN10test_utils4lessELj128ELj4EEvPT_Px,"axG",@progbits,_Z17flag_tails_kernelIisN10test_utils4lessELj128ELj4EEvPT_Px,comdat
.Lfunc_end32:
	.size	_Z17flag_tails_kernelIisN10test_utils4lessELj128ELj4EEvPT_Px, .Lfunc_end32-_Z17flag_tails_kernelIisN10test_utils4lessELj128ELj4EEvPT_Px
                                        ; -- End function
	.set _Z17flag_tails_kernelIisN10test_utils4lessELj128ELj4EEvPT_Px.num_vgpr, 10
	.set _Z17flag_tails_kernelIisN10test_utils4lessELj128ELj4EEvPT_Px.num_agpr, 0
	.set _Z17flag_tails_kernelIisN10test_utils4lessELj128ELj4EEvPT_Px.numbered_sgpr, 12
	.set _Z17flag_tails_kernelIisN10test_utils4lessELj128ELj4EEvPT_Px.num_named_barrier, 0
	.set _Z17flag_tails_kernelIisN10test_utils4lessELj128ELj4EEvPT_Px.private_seg_size, 0
	.set _Z17flag_tails_kernelIisN10test_utils4lessELj128ELj4EEvPT_Px.uses_vcc, 1
	.set _Z17flag_tails_kernelIisN10test_utils4lessELj128ELj4EEvPT_Px.uses_flat_scratch, 0
	.set _Z17flag_tails_kernelIisN10test_utils4lessELj128ELj4EEvPT_Px.has_dyn_sized_stack, 0
	.set _Z17flag_tails_kernelIisN10test_utils4lessELj128ELj4EEvPT_Px.has_recursion, 0
	.set _Z17flag_tails_kernelIisN10test_utils4lessELj128ELj4EEvPT_Px.has_indirect_call, 0
	.section	.AMDGPU.csdata,"",@progbits
; Kernel info:
; codeLenInByte = 492
; TotalNumSgprs: 14
; NumVgprs: 10
; ScratchSize: 0
; MemoryBound: 0
; FloatMode: 240
; IeeeMode: 1
; LDSByteSize: 1024 bytes/workgroup (compile time only)
; SGPRBlocks: 0
; VGPRBlocks: 1
; NumSGPRsForWavesPerEU: 14
; NumVGPRsForWavesPerEU: 10
; Occupancy: 16
; WaveLimiterHint : 0
; COMPUTE_PGM_RSRC2:SCRATCH_EN: 0
; COMPUTE_PGM_RSRC2:USER_SGPR: 6
; COMPUTE_PGM_RSRC2:TRAP_HANDLER: 0
; COMPUTE_PGM_RSRC2:TGID_X_EN: 1
; COMPUTE_PGM_RSRC2:TGID_Y_EN: 0
; COMPUTE_PGM_RSRC2:TGID_Z_EN: 0
; COMPUTE_PGM_RSRC2:TIDIG_COMP_CNT: 0
	.section	.text._Z17flag_tails_kernelIic15custom_flag_op2IiELj64ELj2EEvPT_Px,"axG",@progbits,_Z17flag_tails_kernelIic15custom_flag_op2IiELj64ELj2EEvPT_Px,comdat
	.protected	_Z17flag_tails_kernelIic15custom_flag_op2IiELj64ELj2EEvPT_Px ; -- Begin function _Z17flag_tails_kernelIic15custom_flag_op2IiELj64ELj2EEvPT_Px
	.globl	_Z17flag_tails_kernelIic15custom_flag_op2IiELj64ELj2EEvPT_Px
	.p2align	8
	.type	_Z17flag_tails_kernelIic15custom_flag_op2IiELj64ELj2EEvPT_Px,@function
_Z17flag_tails_kernelIic15custom_flag_op2IiELj64ELj2EEvPT_Px: ; @_Z17flag_tails_kernelIic15custom_flag_op2IiELj64ELj2EEvPT_Px
; %bb.0:
	s_load_dwordx4 s[0:3], s[4:5], 0x0
	s_mov_b32 s5, 0
	s_lshl_b32 s4, s6, 7
	v_lshlrev_b32_e32 v1, 3, v0
	s_lshl_b64 s[8:9], s[4:5], 2
	v_lshlrev_b32_e32 v4, 2, v0
	s_waitcnt lgkmcnt(0)
	s_add_u32 s8, s0, s8
	s_addc_u32 s9, s1, s9
	s_bitcmp1_b32 s6, 0
	global_load_dwordx2 v[1:2], v1, s[8:9]
	s_cselect_b32 s0, -1, 0
	s_and_b32 vcc_lo, exec_lo, s0
	v_cmp_ne_u32_e64 s0, 63, v0
	s_waitcnt vmcnt(0)
	v_sub_nc_u32_e32 v3, v1, v2
	v_cmp_lt_i32_e64 s1, 5, v3
	s_cbranch_vccz .LBB33_4
; %bb.1:
	v_cndmask_b32_e64 v5, 0, 1, s1
	ds_write_b32 v4, v1 offset:256
	s_waitcnt lgkmcnt(0)
	s_barrier
	buffer_gl0_inv
	v_or_b32_e32 v5, 0x100, v5
	v_and_b32_e32 v6, 0xffff, v5
	s_and_saveexec_b32 s1, s0
	s_cbranch_execz .LBB33_3
; %bb.2:
	ds_read_b32 v5, v4 offset:260
	s_waitcnt lgkmcnt(0)
	v_sub_nc_u32_e32 v5, v2, v5
	v_cmp_lt_i32_e32 vcc_lo, 5, v5
	v_cndmask_b32_e64 v5, 0, 1, vcc_lo
	v_lshlrev_b16 v5, 8, v5
	v_or_b32_sdwa v5, v6, v5 dst_sel:DWORD dst_unused:UNUSED_PAD src0_sel:BYTE_0 src1_sel:DWORD
	v_and_b32_e32 v6, 0xffff, v5
.LBB33_3:
	s_or_b32 exec_lo, exec_lo, s1
	v_lshlrev_b32_e32 v5, 1, v0
	s_cbranch_execz .LBB33_5
	s_branch .LBB33_8
.LBB33_4:
                                        ; implicit-def: $vgpr6
	v_lshlrev_b32_e32 v5, 1, v0
.LBB33_5:
	s_load_dword s0, s[8:9], 0x200
	v_cmp_ne_u32_e32 vcc_lo, 63, v0
	ds_write_b32 v4, v1 offset:256
	s_waitcnt lgkmcnt(0)
	s_barrier
	buffer_gl0_inv
	v_mov_b32_e32 v0, s0
	s_and_saveexec_b32 s0, vcc_lo
; %bb.6:
	ds_read_b32 v0, v4 offset:260
; %bb.7:
	s_or_b32 exec_lo, exec_lo, s0
	s_waitcnt lgkmcnt(0)
	v_sub_nc_u32_e32 v0, v2, v0
	v_cmp_lt_i32_e32 vcc_lo, 5, v0
	v_cndmask_b32_e64 v0, 0, 1, vcc_lo
	v_cmp_lt_i32_e32 vcc_lo, 5, v3
	v_lshlrev_b16 v0, 8, v0
	v_cndmask_b32_e64 v1, 0, 1, vcc_lo
	v_or_b32_e32 v0, v1, v0
	v_and_b32_e32 v6, 0xffff, v0
.LBB33_8:
	v_lshrrev_b16 v1, 8, v6
	v_bfe_i32 v0, v6, 0, 8
	s_lshl_b64 s[0:1], s[4:5], 3
	v_lshlrev_b32_e32 v4, 3, v5
	s_add_u32 s0, s2, s0
	v_bfe_i32 v2, v1, 0, 8
	v_ashrrev_i32_e32 v1, 31, v0
	s_addc_u32 s1, s3, s1
	v_ashrrev_i32_e32 v3, 31, v2
	global_store_dwordx4 v4, v[0:3], s[0:1]
	s_endpgm
	.section	.rodata,"a",@progbits
	.p2align	6, 0x0
	.amdhsa_kernel _Z17flag_tails_kernelIic15custom_flag_op2IiELj64ELj2EEvPT_Px
		.amdhsa_group_segment_fixed_size 512
		.amdhsa_private_segment_fixed_size 0
		.amdhsa_kernarg_size 16
		.amdhsa_user_sgpr_count 6
		.amdhsa_user_sgpr_private_segment_buffer 1
		.amdhsa_user_sgpr_dispatch_ptr 0
		.amdhsa_user_sgpr_queue_ptr 0
		.amdhsa_user_sgpr_kernarg_segment_ptr 1
		.amdhsa_user_sgpr_dispatch_id 0
		.amdhsa_user_sgpr_flat_scratch_init 0
		.amdhsa_user_sgpr_private_segment_size 0
		.amdhsa_wavefront_size32 1
		.amdhsa_uses_dynamic_stack 0
		.amdhsa_system_sgpr_private_segment_wavefront_offset 0
		.amdhsa_system_sgpr_workgroup_id_x 1
		.amdhsa_system_sgpr_workgroup_id_y 0
		.amdhsa_system_sgpr_workgroup_id_z 0
		.amdhsa_system_sgpr_workgroup_info 0
		.amdhsa_system_vgpr_workitem_id 0
		.amdhsa_next_free_vgpr 7
		.amdhsa_next_free_sgpr 10
		.amdhsa_reserve_vcc 1
		.amdhsa_reserve_flat_scratch 0
		.amdhsa_float_round_mode_32 0
		.amdhsa_float_round_mode_16_64 0
		.amdhsa_float_denorm_mode_32 3
		.amdhsa_float_denorm_mode_16_64 3
		.amdhsa_dx10_clamp 1
		.amdhsa_ieee_mode 1
		.amdhsa_fp16_overflow 0
		.amdhsa_workgroup_processor_mode 1
		.amdhsa_memory_ordered 1
		.amdhsa_forward_progress 1
		.amdhsa_shared_vgpr_count 0
		.amdhsa_exception_fp_ieee_invalid_op 0
		.amdhsa_exception_fp_denorm_src 0
		.amdhsa_exception_fp_ieee_div_zero 0
		.amdhsa_exception_fp_ieee_overflow 0
		.amdhsa_exception_fp_ieee_underflow 0
		.amdhsa_exception_fp_ieee_inexact 0
		.amdhsa_exception_int_div_zero 0
	.end_amdhsa_kernel
	.section	.text._Z17flag_tails_kernelIic15custom_flag_op2IiELj64ELj2EEvPT_Px,"axG",@progbits,_Z17flag_tails_kernelIic15custom_flag_op2IiELj64ELj2EEvPT_Px,comdat
.Lfunc_end33:
	.size	_Z17flag_tails_kernelIic15custom_flag_op2IiELj64ELj2EEvPT_Px, .Lfunc_end33-_Z17flag_tails_kernelIic15custom_flag_op2IiELj64ELj2EEvPT_Px
                                        ; -- End function
	.set _Z17flag_tails_kernelIic15custom_flag_op2IiELj64ELj2EEvPT_Px.num_vgpr, 7
	.set _Z17flag_tails_kernelIic15custom_flag_op2IiELj64ELj2EEvPT_Px.num_agpr, 0
	.set _Z17flag_tails_kernelIic15custom_flag_op2IiELj64ELj2EEvPT_Px.numbered_sgpr, 10
	.set _Z17flag_tails_kernelIic15custom_flag_op2IiELj64ELj2EEvPT_Px.num_named_barrier, 0
	.set _Z17flag_tails_kernelIic15custom_flag_op2IiELj64ELj2EEvPT_Px.private_seg_size, 0
	.set _Z17flag_tails_kernelIic15custom_flag_op2IiELj64ELj2EEvPT_Px.uses_vcc, 1
	.set _Z17flag_tails_kernelIic15custom_flag_op2IiELj64ELj2EEvPT_Px.uses_flat_scratch, 0
	.set _Z17flag_tails_kernelIic15custom_flag_op2IiELj64ELj2EEvPT_Px.has_dyn_sized_stack, 0
	.set _Z17flag_tails_kernelIic15custom_flag_op2IiELj64ELj2EEvPT_Px.has_recursion, 0
	.set _Z17flag_tails_kernelIic15custom_flag_op2IiELj64ELj2EEvPT_Px.has_indirect_call, 0
	.section	.AMDGPU.csdata,"",@progbits
; Kernel info:
; codeLenInByte = 384
; TotalNumSgprs: 12
; NumVgprs: 7
; ScratchSize: 0
; MemoryBound: 0
; FloatMode: 240
; IeeeMode: 1
; LDSByteSize: 512 bytes/workgroup (compile time only)
; SGPRBlocks: 0
; VGPRBlocks: 0
; NumSGPRsForWavesPerEU: 12
; NumVGPRsForWavesPerEU: 7
; Occupancy: 16
; WaveLimiterHint : 0
; COMPUTE_PGM_RSRC2:SCRATCH_EN: 0
; COMPUTE_PGM_RSRC2:USER_SGPR: 6
; COMPUTE_PGM_RSRC2:TRAP_HANDLER: 0
; COMPUTE_PGM_RSRC2:TGID_X_EN: 1
; COMPUTE_PGM_RSRC2:TGID_Y_EN: 0
; COMPUTE_PGM_RSRC2:TGID_Z_EN: 0
; COMPUTE_PGM_RSRC2:TIDIG_COMP_CNT: 0
	.section	.text._Z17flag_tails_kernelIhbN6hipcub8EqualityELj255ELj1EEvPT_Px,"axG",@progbits,_Z17flag_tails_kernelIhbN6hipcub8EqualityELj255ELj1EEvPT_Px,comdat
	.protected	_Z17flag_tails_kernelIhbN6hipcub8EqualityELj255ELj1EEvPT_Px ; -- Begin function _Z17flag_tails_kernelIhbN6hipcub8EqualityELj255ELj1EEvPT_Px
	.globl	_Z17flag_tails_kernelIhbN6hipcub8EqualityELj255ELj1EEvPT_Px
	.p2align	8
	.type	_Z17flag_tails_kernelIhbN6hipcub8EqualityELj255ELj1EEvPT_Px,@function
_Z17flag_tails_kernelIhbN6hipcub8EqualityELj255ELj1EEvPT_Px: ; @_Z17flag_tails_kernelIhbN6hipcub8EqualityELj255ELj1EEvPT_Px
; %bb.0:
	s_load_dwordx4 s[8:11], s[4:5], 0x0
	s_mul_i32 s2, s6, 0xff
	s_mov_b32 s3, 0
	s_waitcnt lgkmcnt(0)
	s_add_u32 s0, s8, s2
	s_addc_u32 s1, s9, 0
	s_bitcmp1_b32 s6, 0
	global_load_ubyte v1, v0, s[0:1]
	s_cselect_b32 s0, -1, 0
	s_and_b32 vcc_lo, exec_lo, s0
	v_cmp_ne_u32_e64 s0, 0xfe, v0
	s_cbranch_vccz .LBB34_4
; %bb.1:
	s_mov_b32 s1, -1
	s_waitcnt vmcnt(0)
	ds_write_b8 v0, v1 offset:255
	s_waitcnt lgkmcnt(0)
	s_barrier
	buffer_gl0_inv
	s_and_saveexec_b32 s4, s0
	s_cbranch_execz .LBB34_3
; %bb.2:
	ds_read_u8 v2, v0 offset:256
	s_waitcnt lgkmcnt(0)
	v_cmp_eq_u16_sdwa s0, v1, v2 src0_sel:BYTE_0 src1_sel:DWORD
	s_orn2_b32 s1, s0, exec_lo
.LBB34_3:
	s_or_b32 exec_lo, exec_lo, s4
	s_cbranch_execz .LBB34_5
	s_branch .LBB34_8
.LBB34_4:
                                        ; implicit-def: $sgpr1
.LBB34_5:
	s_add_i32 s0, s2, 0xff
	s_waitcnt vmcnt(0)
	ds_write_b8 v0, v1 offset:255
	v_mov_b32_e32 v2, s0
	s_mov_b32 s0, exec_lo
	global_load_ubyte v2, v2, s[8:9]
	s_waitcnt vmcnt(0) lgkmcnt(0)
	s_barrier
	buffer_gl0_inv
	v_cmpx_ne_u32_e32 0xfe, v0
; %bb.6:
	ds_read_u8 v2, v0 offset:256
; %bb.7:
	s_or_b32 exec_lo, exec_lo, s0
	s_waitcnt lgkmcnt(0)
	v_cmp_eq_u16_sdwa s1, v1, v2 src0_sel:BYTE_0 src1_sel:BYTE_0
.LBB34_8:
	s_mov_b32 s0, 0
	s_lshl_b64 s[2:3], s[2:3], 3
	v_lshlrev_b32_e32 v2, 3, v0
	v_cndmask_b32_e64 v0, 0, 1, s1
	s_waitcnt vmcnt(0)
	v_mov_b32_e32 v1, s0
	s_add_u32 s0, s10, s2
	s_addc_u32 s1, s11, s3
	global_store_dwordx2 v2, v[0:1], s[0:1]
	s_endpgm
	.section	.rodata,"a",@progbits
	.p2align	6, 0x0
	.amdhsa_kernel _Z17flag_tails_kernelIhbN6hipcub8EqualityELj255ELj1EEvPT_Px
		.amdhsa_group_segment_fixed_size 510
		.amdhsa_private_segment_fixed_size 0
		.amdhsa_kernarg_size 16
		.amdhsa_user_sgpr_count 6
		.amdhsa_user_sgpr_private_segment_buffer 1
		.amdhsa_user_sgpr_dispatch_ptr 0
		.amdhsa_user_sgpr_queue_ptr 0
		.amdhsa_user_sgpr_kernarg_segment_ptr 1
		.amdhsa_user_sgpr_dispatch_id 0
		.amdhsa_user_sgpr_flat_scratch_init 0
		.amdhsa_user_sgpr_private_segment_size 0
		.amdhsa_wavefront_size32 1
		.amdhsa_uses_dynamic_stack 0
		.amdhsa_system_sgpr_private_segment_wavefront_offset 0
		.amdhsa_system_sgpr_workgroup_id_x 1
		.amdhsa_system_sgpr_workgroup_id_y 0
		.amdhsa_system_sgpr_workgroup_id_z 0
		.amdhsa_system_sgpr_workgroup_info 0
		.amdhsa_system_vgpr_workitem_id 0
		.amdhsa_next_free_vgpr 3
		.amdhsa_next_free_sgpr 12
		.amdhsa_reserve_vcc 1
		.amdhsa_reserve_flat_scratch 0
		.amdhsa_float_round_mode_32 0
		.amdhsa_float_round_mode_16_64 0
		.amdhsa_float_denorm_mode_32 3
		.amdhsa_float_denorm_mode_16_64 3
		.amdhsa_dx10_clamp 1
		.amdhsa_ieee_mode 1
		.amdhsa_fp16_overflow 0
		.amdhsa_workgroup_processor_mode 1
		.amdhsa_memory_ordered 1
		.amdhsa_forward_progress 1
		.amdhsa_shared_vgpr_count 0
		.amdhsa_exception_fp_ieee_invalid_op 0
		.amdhsa_exception_fp_denorm_src 0
		.amdhsa_exception_fp_ieee_div_zero 0
		.amdhsa_exception_fp_ieee_overflow 0
		.amdhsa_exception_fp_ieee_underflow 0
		.amdhsa_exception_fp_ieee_inexact 0
		.amdhsa_exception_int_div_zero 0
	.end_amdhsa_kernel
	.section	.text._Z17flag_tails_kernelIhbN6hipcub8EqualityELj255ELj1EEvPT_Px,"axG",@progbits,_Z17flag_tails_kernelIhbN6hipcub8EqualityELj255ELj1EEvPT_Px,comdat
.Lfunc_end34:
	.size	_Z17flag_tails_kernelIhbN6hipcub8EqualityELj255ELj1EEvPT_Px, .Lfunc_end34-_Z17flag_tails_kernelIhbN6hipcub8EqualityELj255ELj1EEvPT_Px
                                        ; -- End function
	.set _Z17flag_tails_kernelIhbN6hipcub8EqualityELj255ELj1EEvPT_Px.num_vgpr, 3
	.set _Z17flag_tails_kernelIhbN6hipcub8EqualityELj255ELj1EEvPT_Px.num_agpr, 0
	.set _Z17flag_tails_kernelIhbN6hipcub8EqualityELj255ELj1EEvPT_Px.numbered_sgpr, 12
	.set _Z17flag_tails_kernelIhbN6hipcub8EqualityELj255ELj1EEvPT_Px.num_named_barrier, 0
	.set _Z17flag_tails_kernelIhbN6hipcub8EqualityELj255ELj1EEvPT_Px.private_seg_size, 0
	.set _Z17flag_tails_kernelIhbN6hipcub8EqualityELj255ELj1EEvPT_Px.uses_vcc, 1
	.set _Z17flag_tails_kernelIhbN6hipcub8EqualityELj255ELj1EEvPT_Px.uses_flat_scratch, 0
	.set _Z17flag_tails_kernelIhbN6hipcub8EqualityELj255ELj1EEvPT_Px.has_dyn_sized_stack, 0
	.set _Z17flag_tails_kernelIhbN6hipcub8EqualityELj255ELj1EEvPT_Px.has_recursion, 0
	.set _Z17flag_tails_kernelIhbN6hipcub8EqualityELj255ELj1EEvPT_Px.has_indirect_call, 0
	.section	.AMDGPU.csdata,"",@progbits
; Kernel info:
; codeLenInByte = 276
; TotalNumSgprs: 14
; NumVgprs: 3
; ScratchSize: 0
; MemoryBound: 0
; FloatMode: 240
; IeeeMode: 1
; LDSByteSize: 510 bytes/workgroup (compile time only)
; SGPRBlocks: 0
; VGPRBlocks: 0
; NumSGPRsForWavesPerEU: 14
; NumVGPRsForWavesPerEU: 3
; Occupancy: 16
; WaveLimiterHint : 0
; COMPUTE_PGM_RSRC2:SCRATCH_EN: 0
; COMPUTE_PGM_RSRC2:USER_SGPR: 6
; COMPUTE_PGM_RSRC2:TRAP_HANDLER: 0
; COMPUTE_PGM_RSRC2:TGID_X_EN: 1
; COMPUTE_PGM_RSRC2:TGID_Y_EN: 0
; COMPUTE_PGM_RSRC2:TGID_Z_EN: 0
; COMPUTE_PGM_RSRC2:TIDIG_COMP_CNT: 0
	.section	.text._Z17flag_tails_kernelIjxN6hipcub10InequalityELj162ELj1EEvPT_Px,"axG",@progbits,_Z17flag_tails_kernelIjxN6hipcub10InequalityELj162ELj1EEvPT_Px,comdat
	.protected	_Z17flag_tails_kernelIjxN6hipcub10InequalityELj162ELj1EEvPT_Px ; -- Begin function _Z17flag_tails_kernelIjxN6hipcub10InequalityELj162ELj1EEvPT_Px
	.globl	_Z17flag_tails_kernelIjxN6hipcub10InequalityELj162ELj1EEvPT_Px
	.p2align	8
	.type	_Z17flag_tails_kernelIjxN6hipcub10InequalityELj162ELj1EEvPT_Px,@function
_Z17flag_tails_kernelIjxN6hipcub10InequalityELj162ELj1EEvPT_Px: ; @_Z17flag_tails_kernelIjxN6hipcub10InequalityELj162ELj1EEvPT_Px
; %bb.0:
	s_load_dwordx4 s[8:11], s[4:5], 0x0
	s_mul_i32 s2, s6, 0xa2
	s_mov_b32 s3, 0
	v_lshlrev_b32_e32 v2, 2, v0
	s_lshl_b64 s[0:1], s[2:3], 2
	s_waitcnt lgkmcnt(0)
	s_add_u32 s0, s8, s0
	s_addc_u32 s1, s9, s1
	s_bitcmp1_b32 s6, 0
	global_load_dword v1, v2, s[0:1]
	s_cselect_b32 s0, -1, 0
	s_and_b32 vcc_lo, exec_lo, s0
	v_cmp_ne_u32_e64 s0, 0xa1, v0
	s_cbranch_vccz .LBB35_4
; %bb.1:
	s_mov_b32 s1, -1
	s_waitcnt vmcnt(0)
	ds_write_b32 v2, v1 offset:648
	s_waitcnt lgkmcnt(0)
	s_barrier
	buffer_gl0_inv
	s_and_saveexec_b32 s4, s0
	s_cbranch_execz .LBB35_3
; %bb.2:
	ds_read_b32 v3, v2 offset:652
	s_waitcnt lgkmcnt(0)
	v_cmp_ne_u32_e32 vcc_lo, v1, v3
	s_orn2_b32 s1, vcc_lo, exec_lo
.LBB35_3:
	s_or_b32 exec_lo, exec_lo, s4
	s_cbranch_execz .LBB35_5
	s_branch .LBB35_8
.LBB35_4:
                                        ; implicit-def: $sgpr1
.LBB35_5:
	s_add_i32 s0, s2, 0xa2
	s_mov_b32 s1, 0
	s_waitcnt vmcnt(0)
	ds_write_b32 v2, v1 offset:648
	s_lshl_b64 s[0:1], s[0:1], 2
	s_add_u32 s0, s8, s0
	s_addc_u32 s1, s9, s1
	s_load_dword s0, s[0:1], 0x0
	s_waitcnt lgkmcnt(0)
	s_barrier
	buffer_gl0_inv
	v_mov_b32_e32 v3, s0
	s_mov_b32 s0, exec_lo
	v_cmpx_ne_u32_e32 0xa1, v0
; %bb.6:
	ds_read_b32 v3, v2 offset:652
; %bb.7:
	s_or_b32 exec_lo, exec_lo, s0
	s_waitcnt lgkmcnt(0)
	v_cmp_ne_u32_e64 s1, v1, v3
.LBB35_8:
	s_mov_b32 s0, 0
	s_waitcnt vmcnt(0)
	v_cndmask_b32_e64 v1, 0, 1, s1
	v_mov_b32_e32 v2, s0
	s_lshl_b64 s[0:1], s[2:3], 3
	v_lshlrev_b32_e32 v0, 3, v0
	s_add_u32 s0, s10, s0
	s_addc_u32 s1, s11, s1
	global_store_dwordx2 v0, v[1:2], s[0:1]
	s_endpgm
	.section	.rodata,"a",@progbits
	.p2align	6, 0x0
	.amdhsa_kernel _Z17flag_tails_kernelIjxN6hipcub10InequalityELj162ELj1EEvPT_Px
		.amdhsa_group_segment_fixed_size 1296
		.amdhsa_private_segment_fixed_size 0
		.amdhsa_kernarg_size 16
		.amdhsa_user_sgpr_count 6
		.amdhsa_user_sgpr_private_segment_buffer 1
		.amdhsa_user_sgpr_dispatch_ptr 0
		.amdhsa_user_sgpr_queue_ptr 0
		.amdhsa_user_sgpr_kernarg_segment_ptr 1
		.amdhsa_user_sgpr_dispatch_id 0
		.amdhsa_user_sgpr_flat_scratch_init 0
		.amdhsa_user_sgpr_private_segment_size 0
		.amdhsa_wavefront_size32 1
		.amdhsa_uses_dynamic_stack 0
		.amdhsa_system_sgpr_private_segment_wavefront_offset 0
		.amdhsa_system_sgpr_workgroup_id_x 1
		.amdhsa_system_sgpr_workgroup_id_y 0
		.amdhsa_system_sgpr_workgroup_id_z 0
		.amdhsa_system_sgpr_workgroup_info 0
		.amdhsa_system_vgpr_workitem_id 0
		.amdhsa_next_free_vgpr 4
		.amdhsa_next_free_sgpr 12
		.amdhsa_reserve_vcc 1
		.amdhsa_reserve_flat_scratch 0
		.amdhsa_float_round_mode_32 0
		.amdhsa_float_round_mode_16_64 0
		.amdhsa_float_denorm_mode_32 3
		.amdhsa_float_denorm_mode_16_64 3
		.amdhsa_dx10_clamp 1
		.amdhsa_ieee_mode 1
		.amdhsa_fp16_overflow 0
		.amdhsa_workgroup_processor_mode 1
		.amdhsa_memory_ordered 1
		.amdhsa_forward_progress 1
		.amdhsa_shared_vgpr_count 0
		.amdhsa_exception_fp_ieee_invalid_op 0
		.amdhsa_exception_fp_denorm_src 0
		.amdhsa_exception_fp_ieee_div_zero 0
		.amdhsa_exception_fp_ieee_overflow 0
		.amdhsa_exception_fp_ieee_underflow 0
		.amdhsa_exception_fp_ieee_inexact 0
		.amdhsa_exception_int_div_zero 0
	.end_amdhsa_kernel
	.section	.text._Z17flag_tails_kernelIjxN6hipcub10InequalityELj162ELj1EEvPT_Px,"axG",@progbits,_Z17flag_tails_kernelIjxN6hipcub10InequalityELj162ELj1EEvPT_Px,comdat
.Lfunc_end35:
	.size	_Z17flag_tails_kernelIjxN6hipcub10InequalityELj162ELj1EEvPT_Px, .Lfunc_end35-_Z17flag_tails_kernelIjxN6hipcub10InequalityELj162ELj1EEvPT_Px
                                        ; -- End function
	.set _Z17flag_tails_kernelIjxN6hipcub10InequalityELj162ELj1EEvPT_Px.num_vgpr, 4
	.set _Z17flag_tails_kernelIjxN6hipcub10InequalityELj162ELj1EEvPT_Px.num_agpr, 0
	.set _Z17flag_tails_kernelIjxN6hipcub10InequalityELj162ELj1EEvPT_Px.numbered_sgpr, 12
	.set _Z17flag_tails_kernelIjxN6hipcub10InequalityELj162ELj1EEvPT_Px.num_named_barrier, 0
	.set _Z17flag_tails_kernelIjxN6hipcub10InequalityELj162ELj1EEvPT_Px.private_seg_size, 0
	.set _Z17flag_tails_kernelIjxN6hipcub10InequalityELj162ELj1EEvPT_Px.uses_vcc, 1
	.set _Z17flag_tails_kernelIjxN6hipcub10InequalityELj162ELj1EEvPT_Px.uses_flat_scratch, 0
	.set _Z17flag_tails_kernelIjxN6hipcub10InequalityELj162ELj1EEvPT_Px.has_dyn_sized_stack, 0
	.set _Z17flag_tails_kernelIjxN6hipcub10InequalityELj162ELj1EEvPT_Px.has_recursion, 0
	.set _Z17flag_tails_kernelIjxN6hipcub10InequalityELj162ELj1EEvPT_Px.has_indirect_call, 0
	.section	.AMDGPU.csdata,"",@progbits
; Kernel info:
; codeLenInByte = 296
; TotalNumSgprs: 14
; NumVgprs: 4
; ScratchSize: 0
; MemoryBound: 0
; FloatMode: 240
; IeeeMode: 1
; LDSByteSize: 1296 bytes/workgroup (compile time only)
; SGPRBlocks: 0
; VGPRBlocks: 0
; NumSGPRsForWavesPerEU: 14
; NumVGPRsForWavesPerEU: 4
; Occupancy: 16
; WaveLimiterHint : 0
; COMPUTE_PGM_RSRC2:SCRATCH_EN: 0
; COMPUTE_PGM_RSRC2:USER_SGPR: 6
; COMPUTE_PGM_RSRC2:TRAP_HANDLER: 0
; COMPUTE_PGM_RSRC2:TGID_X_EN: 1
; COMPUTE_PGM_RSRC2:TGID_Y_EN: 0
; COMPUTE_PGM_RSRC2:TGID_Z_EN: 0
; COMPUTE_PGM_RSRC2:TIDIG_COMP_CNT: 0
	.section	.text._Z17flag_tails_kernelIxcN10test_utils13greater_equalELj510ELj1EEvPT_Px,"axG",@progbits,_Z17flag_tails_kernelIxcN10test_utils13greater_equalELj510ELj1EEvPT_Px,comdat
	.protected	_Z17flag_tails_kernelIxcN10test_utils13greater_equalELj510ELj1EEvPT_Px ; -- Begin function _Z17flag_tails_kernelIxcN10test_utils13greater_equalELj510ELj1EEvPT_Px
	.globl	_Z17flag_tails_kernelIxcN10test_utils13greater_equalELj510ELj1EEvPT_Px
	.p2align	8
	.type	_Z17flag_tails_kernelIxcN10test_utils13greater_equalELj510ELj1EEvPT_Px,@function
_Z17flag_tails_kernelIxcN10test_utils13greater_equalELj510ELj1EEvPT_Px: ; @_Z17flag_tails_kernelIxcN10test_utils13greater_equalELj510ELj1EEvPT_Px
; %bb.0:
	s_load_dwordx4 s[8:11], s[4:5], 0x0
	s_mul_i32 s4, s6, 0x1fe
	s_mov_b32 s5, 0
	v_lshlrev_b32_e32 v5, 3, v0
	s_lshl_b64 s[2:3], s[4:5], 3
	s_waitcnt lgkmcnt(0)
	s_add_u32 s0, s8, s2
	s_addc_u32 s1, s9, s3
	s_bitcmp1_b32 s6, 0
	global_load_dwordx2 v[1:2], v5, s[0:1]
	s_cselect_b32 s0, -1, 0
	s_and_b32 vcc_lo, exec_lo, s0
	v_cmp_ne_u32_e64 s0, 0x1fd, v0
	s_cbranch_vccz .LBB36_4
; %bb.1:
	s_mov_b32 s1, -1
	s_waitcnt vmcnt(0)
	ds_write_b64 v5, v[1:2] offset:4080
	s_waitcnt lgkmcnt(0)
	s_barrier
	buffer_gl0_inv
	s_and_saveexec_b32 s5, s0
	s_cbranch_execz .LBB36_3
; %bb.2:
	ds_read_b64 v[3:4], v5 offset:4088
	s_waitcnt lgkmcnt(0)
	v_cmp_ge_i64_e32 vcc_lo, v[1:2], v[3:4]
	s_orn2_b32 s1, vcc_lo, exec_lo
.LBB36_3:
	s_or_b32 exec_lo, exec_lo, s5
	s_cbranch_execz .LBB36_5
	s_branch .LBB36_8
.LBB36_4:
                                        ; implicit-def: $sgpr1
.LBB36_5:
	s_add_i32 s0, s4, 0x1fe
	s_mov_b32 s1, 0
	s_waitcnt vmcnt(0)
	ds_write_b64 v5, v[1:2] offset:4080
	s_lshl_b64 s[0:1], s[0:1], 3
	s_add_u32 s0, s8, s0
	s_addc_u32 s1, s9, s1
	s_load_dwordx2 s[0:1], s[0:1], 0x0
	s_waitcnt lgkmcnt(0)
	s_barrier
	buffer_gl0_inv
	v_mov_b32_e32 v4, s1
	v_mov_b32_e32 v3, s0
	s_mov_b32 s0, exec_lo
	v_cmpx_ne_u32_e32 0x1fd, v0
; %bb.6:
	ds_read_b64 v[3:4], v5 offset:4088
; %bb.7:
	s_or_b32 exec_lo, exec_lo, s0
	s_waitcnt lgkmcnt(0)
	v_cmp_ge_i64_e64 s1, v[1:2], v[3:4]
.LBB36_8:
	s_mov_b32 s0, 0
	v_cndmask_b32_e64 v0, 0, 1, s1
	s_waitcnt vmcnt(0)
	v_mov_b32_e32 v1, s0
	s_add_u32 s0, s10, s2
	s_addc_u32 s1, s11, s3
	global_store_dwordx2 v5, v[0:1], s[0:1]
	s_endpgm
	.section	.rodata,"a",@progbits
	.p2align	6, 0x0
	.amdhsa_kernel _Z17flag_tails_kernelIxcN10test_utils13greater_equalELj510ELj1EEvPT_Px
		.amdhsa_group_segment_fixed_size 8160
		.amdhsa_private_segment_fixed_size 0
		.amdhsa_kernarg_size 16
		.amdhsa_user_sgpr_count 6
		.amdhsa_user_sgpr_private_segment_buffer 1
		.amdhsa_user_sgpr_dispatch_ptr 0
		.amdhsa_user_sgpr_queue_ptr 0
		.amdhsa_user_sgpr_kernarg_segment_ptr 1
		.amdhsa_user_sgpr_dispatch_id 0
		.amdhsa_user_sgpr_flat_scratch_init 0
		.amdhsa_user_sgpr_private_segment_size 0
		.amdhsa_wavefront_size32 1
		.amdhsa_uses_dynamic_stack 0
		.amdhsa_system_sgpr_private_segment_wavefront_offset 0
		.amdhsa_system_sgpr_workgroup_id_x 1
		.amdhsa_system_sgpr_workgroup_id_y 0
		.amdhsa_system_sgpr_workgroup_id_z 0
		.amdhsa_system_sgpr_workgroup_info 0
		.amdhsa_system_vgpr_workitem_id 0
		.amdhsa_next_free_vgpr 6
		.amdhsa_next_free_sgpr 12
		.amdhsa_reserve_vcc 1
		.amdhsa_reserve_flat_scratch 0
		.amdhsa_float_round_mode_32 0
		.amdhsa_float_round_mode_16_64 0
		.amdhsa_float_denorm_mode_32 3
		.amdhsa_float_denorm_mode_16_64 3
		.amdhsa_dx10_clamp 1
		.amdhsa_ieee_mode 1
		.amdhsa_fp16_overflow 0
		.amdhsa_workgroup_processor_mode 1
		.amdhsa_memory_ordered 1
		.amdhsa_forward_progress 1
		.amdhsa_shared_vgpr_count 0
		.amdhsa_exception_fp_ieee_invalid_op 0
		.amdhsa_exception_fp_denorm_src 0
		.amdhsa_exception_fp_ieee_div_zero 0
		.amdhsa_exception_fp_ieee_overflow 0
		.amdhsa_exception_fp_ieee_underflow 0
		.amdhsa_exception_fp_ieee_inexact 0
		.amdhsa_exception_int_div_zero 0
	.end_amdhsa_kernel
	.section	.text._Z17flag_tails_kernelIxcN10test_utils13greater_equalELj510ELj1EEvPT_Px,"axG",@progbits,_Z17flag_tails_kernelIxcN10test_utils13greater_equalELj510ELj1EEvPT_Px,comdat
.Lfunc_end36:
	.size	_Z17flag_tails_kernelIxcN10test_utils13greater_equalELj510ELj1EEvPT_Px, .Lfunc_end36-_Z17flag_tails_kernelIxcN10test_utils13greater_equalELj510ELj1EEvPT_Px
                                        ; -- End function
	.set _Z17flag_tails_kernelIxcN10test_utils13greater_equalELj510ELj1EEvPT_Px.num_vgpr, 6
	.set _Z17flag_tails_kernelIxcN10test_utils13greater_equalELj510ELj1EEvPT_Px.num_agpr, 0
	.set _Z17flag_tails_kernelIxcN10test_utils13greater_equalELj510ELj1EEvPT_Px.numbered_sgpr, 12
	.set _Z17flag_tails_kernelIxcN10test_utils13greater_equalELj510ELj1EEvPT_Px.num_named_barrier, 0
	.set _Z17flag_tails_kernelIxcN10test_utils13greater_equalELj510ELj1EEvPT_Px.private_seg_size, 0
	.set _Z17flag_tails_kernelIxcN10test_utils13greater_equalELj510ELj1EEvPT_Px.uses_vcc, 1
	.set _Z17flag_tails_kernelIxcN10test_utils13greater_equalELj510ELj1EEvPT_Px.uses_flat_scratch, 0
	.set _Z17flag_tails_kernelIxcN10test_utils13greater_equalELj510ELj1EEvPT_Px.has_dyn_sized_stack, 0
	.set _Z17flag_tails_kernelIxcN10test_utils13greater_equalELj510ELj1EEvPT_Px.has_recursion, 0
	.set _Z17flag_tails_kernelIxcN10test_utils13greater_equalELj510ELj1EEvPT_Px.has_indirect_call, 0
	.section	.AMDGPU.csdata,"",@progbits
; Kernel info:
; codeLenInByte = 292
; TotalNumSgprs: 14
; NumVgprs: 6
; ScratchSize: 0
; MemoryBound: 0
; FloatMode: 240
; IeeeMode: 1
; LDSByteSize: 8160 bytes/workgroup (compile time only)
; SGPRBlocks: 0
; VGPRBlocks: 0
; NumSGPRsForWavesPerEU: 14
; NumVGPRsForWavesPerEU: 6
; Occupancy: 16
; WaveLimiterHint : 0
; COMPUTE_PGM_RSRC2:SCRATCH_EN: 0
; COMPUTE_PGM_RSRC2:USER_SGPR: 6
; COMPUTE_PGM_RSRC2:TRAP_HANDLER: 0
; COMPUTE_PGM_RSRC2:TGID_X_EN: 1
; COMPUTE_PGM_RSRC2:TGID_Y_EN: 0
; COMPUTE_PGM_RSRC2:TGID_Z_EN: 0
; COMPUTE_PGM_RSRC2:TIDIG_COMP_CNT: 0
	.section	.text._Z17flag_tails_kernelI12hip_bfloat16iN10test_utils7greaterELj37ELj1EEvPT_Px,"axG",@progbits,_Z17flag_tails_kernelI12hip_bfloat16iN10test_utils7greaterELj37ELj1EEvPT_Px,comdat
	.protected	_Z17flag_tails_kernelI12hip_bfloat16iN10test_utils7greaterELj37ELj1EEvPT_Px ; -- Begin function _Z17flag_tails_kernelI12hip_bfloat16iN10test_utils7greaterELj37ELj1EEvPT_Px
	.globl	_Z17flag_tails_kernelI12hip_bfloat16iN10test_utils7greaterELj37ELj1EEvPT_Px
	.p2align	8
	.type	_Z17flag_tails_kernelI12hip_bfloat16iN10test_utils7greaterELj37ELj1EEvPT_Px,@function
_Z17flag_tails_kernelI12hip_bfloat16iN10test_utils7greaterELj37ELj1EEvPT_Px: ; @_Z17flag_tails_kernelI12hip_bfloat16iN10test_utils7greaterELj37ELj1EEvPT_Px
; %bb.0:
	s_load_dwordx4 s[8:11], s[4:5], 0x0
	s_mul_i32 s2, s6, 37
	s_mov_b32 s3, 0
	v_lshlrev_b32_e32 v2, 1, v0
	s_lshl_b64 s[0:1], s[2:3], 1
	s_waitcnt lgkmcnt(0)
	s_add_u32 s0, s8, s0
	s_addc_u32 s1, s9, s1
	s_bitcmp1_b32 s6, 0
	global_load_ushort v1, v2, s[0:1]
	s_cselect_b32 s0, -1, 0
	s_and_b32 vcc_lo, exec_lo, s0
	v_cmp_ne_u32_e64 s0, 36, v0
	s_cbranch_vccz .LBB37_4
; %bb.1:
	s_mov_b32 s1, -1
	s_waitcnt vmcnt(0)
	ds_write_b16 v2, v1 offset:74
	s_waitcnt lgkmcnt(0)
	s_barrier
	buffer_gl0_inv
	s_and_saveexec_b32 s4, s0
	s_cbranch_execz .LBB37_3
; %bb.2:
	ds_read_u16 v3, v2 offset:76
	v_lshlrev_b32_e32 v4, 16, v1
	s_waitcnt lgkmcnt(0)
	v_lshlrev_b32_e32 v3, 16, v3
	v_cmp_lt_f32_e32 vcc_lo, v3, v4
	s_orn2_b32 s1, vcc_lo, exec_lo
.LBB37_3:
	s_or_b32 exec_lo, exec_lo, s4
	s_cbranch_execz .LBB37_5
	s_branch .LBB37_8
.LBB37_4:
                                        ; implicit-def: $sgpr1
.LBB37_5:
	s_add_i32 s0, s2, 37
	s_mov_b32 s1, 0
	v_mov_b32_e32 v3, 0
	s_lshl_b64 s[0:1], s[0:1], 1
	s_waitcnt vmcnt(0)
	ds_write_b16 v2, v1 offset:74
	s_add_u32 s0, s8, s0
	s_addc_u32 s1, s9, s1
	global_load_ushort v3, v3, s[0:1]
	s_mov_b32 s0, exec_lo
	s_waitcnt vmcnt(0) lgkmcnt(0)
	s_barrier
	buffer_gl0_inv
	v_cmpx_ne_u32_e32 36, v0
; %bb.6:
	ds_read_u16 v3, v2 offset:76
; %bb.7:
	s_or_b32 exec_lo, exec_lo, s0
	v_lshlrev_b32_e32 v1, 16, v1
	s_waitcnt lgkmcnt(0)
	v_lshlrev_b32_e32 v2, 16, v3
	v_cmp_lt_f32_e64 s1, v2, v1
.LBB37_8:
	s_mov_b32 s0, 0
	s_lshl_b64 s[2:3], s[2:3], 3
	v_lshlrev_b32_e32 v2, 3, v0
	v_cndmask_b32_e64 v0, 0, 1, s1
	s_waitcnt vmcnt(0)
	v_mov_b32_e32 v1, s0
	s_add_u32 s0, s10, s2
	s_addc_u32 s1, s11, s3
	global_store_dwordx2 v2, v[0:1], s[0:1]
	s_endpgm
	.section	.rodata,"a",@progbits
	.p2align	6, 0x0
	.amdhsa_kernel _Z17flag_tails_kernelI12hip_bfloat16iN10test_utils7greaterELj37ELj1EEvPT_Px
		.amdhsa_group_segment_fixed_size 148
		.amdhsa_private_segment_fixed_size 0
		.amdhsa_kernarg_size 16
		.amdhsa_user_sgpr_count 6
		.amdhsa_user_sgpr_private_segment_buffer 1
		.amdhsa_user_sgpr_dispatch_ptr 0
		.amdhsa_user_sgpr_queue_ptr 0
		.amdhsa_user_sgpr_kernarg_segment_ptr 1
		.amdhsa_user_sgpr_dispatch_id 0
		.amdhsa_user_sgpr_flat_scratch_init 0
		.amdhsa_user_sgpr_private_segment_size 0
		.amdhsa_wavefront_size32 1
		.amdhsa_uses_dynamic_stack 0
		.amdhsa_system_sgpr_private_segment_wavefront_offset 0
		.amdhsa_system_sgpr_workgroup_id_x 1
		.amdhsa_system_sgpr_workgroup_id_y 0
		.amdhsa_system_sgpr_workgroup_id_z 0
		.amdhsa_system_sgpr_workgroup_info 0
		.amdhsa_system_vgpr_workitem_id 0
		.amdhsa_next_free_vgpr 5
		.amdhsa_next_free_sgpr 12
		.amdhsa_reserve_vcc 1
		.amdhsa_reserve_flat_scratch 0
		.amdhsa_float_round_mode_32 0
		.amdhsa_float_round_mode_16_64 0
		.amdhsa_float_denorm_mode_32 3
		.amdhsa_float_denorm_mode_16_64 3
		.amdhsa_dx10_clamp 1
		.amdhsa_ieee_mode 1
		.amdhsa_fp16_overflow 0
		.amdhsa_workgroup_processor_mode 1
		.amdhsa_memory_ordered 1
		.amdhsa_forward_progress 1
		.amdhsa_shared_vgpr_count 0
		.amdhsa_exception_fp_ieee_invalid_op 0
		.amdhsa_exception_fp_denorm_src 0
		.amdhsa_exception_fp_ieee_div_zero 0
		.amdhsa_exception_fp_ieee_overflow 0
		.amdhsa_exception_fp_ieee_underflow 0
		.amdhsa_exception_fp_ieee_inexact 0
		.amdhsa_exception_int_div_zero 0
	.end_amdhsa_kernel
	.section	.text._Z17flag_tails_kernelI12hip_bfloat16iN10test_utils7greaterELj37ELj1EEvPT_Px,"axG",@progbits,_Z17flag_tails_kernelI12hip_bfloat16iN10test_utils7greaterELj37ELj1EEvPT_Px,comdat
.Lfunc_end37:
	.size	_Z17flag_tails_kernelI12hip_bfloat16iN10test_utils7greaterELj37ELj1EEvPT_Px, .Lfunc_end37-_Z17flag_tails_kernelI12hip_bfloat16iN10test_utils7greaterELj37ELj1EEvPT_Px
                                        ; -- End function
	.set _Z17flag_tails_kernelI12hip_bfloat16iN10test_utils7greaterELj37ELj1EEvPT_Px.num_vgpr, 5
	.set _Z17flag_tails_kernelI12hip_bfloat16iN10test_utils7greaterELj37ELj1EEvPT_Px.num_agpr, 0
	.set _Z17flag_tails_kernelI12hip_bfloat16iN10test_utils7greaterELj37ELj1EEvPT_Px.numbered_sgpr, 12
	.set _Z17flag_tails_kernelI12hip_bfloat16iN10test_utils7greaterELj37ELj1EEvPT_Px.num_named_barrier, 0
	.set _Z17flag_tails_kernelI12hip_bfloat16iN10test_utils7greaterELj37ELj1EEvPT_Px.private_seg_size, 0
	.set _Z17flag_tails_kernelI12hip_bfloat16iN10test_utils7greaterELj37ELj1EEvPT_Px.uses_vcc, 1
	.set _Z17flag_tails_kernelI12hip_bfloat16iN10test_utils7greaterELj37ELj1EEvPT_Px.uses_flat_scratch, 0
	.set _Z17flag_tails_kernelI12hip_bfloat16iN10test_utils7greaterELj37ELj1EEvPT_Px.has_dyn_sized_stack, 0
	.set _Z17flag_tails_kernelI12hip_bfloat16iN10test_utils7greaterELj37ELj1EEvPT_Px.has_recursion, 0
	.set _Z17flag_tails_kernelI12hip_bfloat16iN10test_utils7greaterELj37ELj1EEvPT_Px.has_indirect_call, 0
	.section	.AMDGPU.csdata,"",@progbits
; Kernel info:
; codeLenInByte = 296
; TotalNumSgprs: 14
; NumVgprs: 5
; ScratchSize: 0
; MemoryBound: 0
; FloatMode: 240
; IeeeMode: 1
; LDSByteSize: 148 bytes/workgroup (compile time only)
; SGPRBlocks: 0
; VGPRBlocks: 0
; NumSGPRsForWavesPerEU: 14
; NumVGPRsForWavesPerEU: 5
; Occupancy: 16
; WaveLimiterHint : 0
; COMPUTE_PGM_RSRC2:SCRATCH_EN: 0
; COMPUTE_PGM_RSRC2:USER_SGPR: 6
; COMPUTE_PGM_RSRC2:TRAP_HANDLER: 0
; COMPUTE_PGM_RSRC2:TGID_X_EN: 1
; COMPUTE_PGM_RSRC2:TGID_Y_EN: 0
; COMPUTE_PGM_RSRC2:TGID_Z_EN: 0
; COMPUTE_PGM_RSRC2:TIDIG_COMP_CNT: 0
	.section	.text._Z17flag_tails_kernelI6__halfiN10test_utils7greaterELj37ELj1EEvPT_Px,"axG",@progbits,_Z17flag_tails_kernelI6__halfiN10test_utils7greaterELj37ELj1EEvPT_Px,comdat
	.protected	_Z17flag_tails_kernelI6__halfiN10test_utils7greaterELj37ELj1EEvPT_Px ; -- Begin function _Z17flag_tails_kernelI6__halfiN10test_utils7greaterELj37ELj1EEvPT_Px
	.globl	_Z17flag_tails_kernelI6__halfiN10test_utils7greaterELj37ELj1EEvPT_Px
	.p2align	8
	.type	_Z17flag_tails_kernelI6__halfiN10test_utils7greaterELj37ELj1EEvPT_Px,@function
_Z17flag_tails_kernelI6__halfiN10test_utils7greaterELj37ELj1EEvPT_Px: ; @_Z17flag_tails_kernelI6__halfiN10test_utils7greaterELj37ELj1EEvPT_Px
; %bb.0:
	s_load_dwordx4 s[8:11], s[4:5], 0x0
	s_mul_i32 s2, s6, 37
	s_mov_b32 s3, 0
	v_lshlrev_b32_e32 v2, 1, v0
	s_lshl_b64 s[0:1], s[2:3], 1
	s_waitcnt lgkmcnt(0)
	s_add_u32 s0, s8, s0
	s_addc_u32 s1, s9, s1
	s_bitcmp1_b32 s6, 0
	global_load_ushort v1, v2, s[0:1]
	s_cselect_b32 s0, -1, 0
	s_and_b32 vcc_lo, exec_lo, s0
	v_cmp_ne_u32_e64 s0, 36, v0
	s_cbranch_vccz .LBB38_4
; %bb.1:
	s_mov_b32 s1, -1
	s_waitcnt vmcnt(0)
	ds_write_b16 v2, v1 offset:74
	s_waitcnt lgkmcnt(0)
	s_barrier
	buffer_gl0_inv
	s_and_saveexec_b32 s4, s0
	s_cbranch_execz .LBB38_3
; %bb.2:
	ds_read_u16 v3, v2 offset:76
	s_waitcnt lgkmcnt(0)
	v_cmp_lt_f16_e32 vcc_lo, v3, v1
	s_orn2_b32 s1, vcc_lo, exec_lo
.LBB38_3:
	s_or_b32 exec_lo, exec_lo, s4
	s_cbranch_execz .LBB38_5
	s_branch .LBB38_8
.LBB38_4:
                                        ; implicit-def: $sgpr1
.LBB38_5:
	s_add_i32 s0, s2, 37
	s_mov_b32 s1, 0
	v_mov_b32_e32 v3, 0
	s_lshl_b64 s[0:1], s[0:1], 1
	s_waitcnt vmcnt(0)
	ds_write_b16 v2, v1 offset:74
	s_add_u32 s0, s8, s0
	s_addc_u32 s1, s9, s1
	global_load_ushort v3, v3, s[0:1]
	s_mov_b32 s0, exec_lo
	s_waitcnt vmcnt(0) lgkmcnt(0)
	s_barrier
	buffer_gl0_inv
	v_cmpx_ne_u32_e32 36, v0
; %bb.6:
	ds_read_u16 v3, v2 offset:76
; %bb.7:
	s_or_b32 exec_lo, exec_lo, s0
	s_waitcnt lgkmcnt(0)
	v_cmp_lt_f16_e64 s1, v3, v1
.LBB38_8:
	s_mov_b32 s0, 0
	s_lshl_b64 s[2:3], s[2:3], 3
	v_lshlrev_b32_e32 v2, 3, v0
	v_cndmask_b32_e64 v0, 0, 1, s1
	s_waitcnt vmcnt(0)
	v_mov_b32_e32 v1, s0
	s_add_u32 s0, s10, s2
	s_addc_u32 s1, s11, s3
	global_store_dwordx2 v2, v[0:1], s[0:1]
	s_endpgm
	.section	.rodata,"a",@progbits
	.p2align	6, 0x0
	.amdhsa_kernel _Z17flag_tails_kernelI6__halfiN10test_utils7greaterELj37ELj1EEvPT_Px
		.amdhsa_group_segment_fixed_size 148
		.amdhsa_private_segment_fixed_size 0
		.amdhsa_kernarg_size 16
		.amdhsa_user_sgpr_count 6
		.amdhsa_user_sgpr_private_segment_buffer 1
		.amdhsa_user_sgpr_dispatch_ptr 0
		.amdhsa_user_sgpr_queue_ptr 0
		.amdhsa_user_sgpr_kernarg_segment_ptr 1
		.amdhsa_user_sgpr_dispatch_id 0
		.amdhsa_user_sgpr_flat_scratch_init 0
		.amdhsa_user_sgpr_private_segment_size 0
		.amdhsa_wavefront_size32 1
		.amdhsa_uses_dynamic_stack 0
		.amdhsa_system_sgpr_private_segment_wavefront_offset 0
		.amdhsa_system_sgpr_workgroup_id_x 1
		.amdhsa_system_sgpr_workgroup_id_y 0
		.amdhsa_system_sgpr_workgroup_id_z 0
		.amdhsa_system_sgpr_workgroup_info 0
		.amdhsa_system_vgpr_workitem_id 0
		.amdhsa_next_free_vgpr 4
		.amdhsa_next_free_sgpr 12
		.amdhsa_reserve_vcc 1
		.amdhsa_reserve_flat_scratch 0
		.amdhsa_float_round_mode_32 0
		.amdhsa_float_round_mode_16_64 0
		.amdhsa_float_denorm_mode_32 3
		.amdhsa_float_denorm_mode_16_64 3
		.amdhsa_dx10_clamp 1
		.amdhsa_ieee_mode 1
		.amdhsa_fp16_overflow 0
		.amdhsa_workgroup_processor_mode 1
		.amdhsa_memory_ordered 1
		.amdhsa_forward_progress 1
		.amdhsa_shared_vgpr_count 0
		.amdhsa_exception_fp_ieee_invalid_op 0
		.amdhsa_exception_fp_denorm_src 0
		.amdhsa_exception_fp_ieee_div_zero 0
		.amdhsa_exception_fp_ieee_overflow 0
		.amdhsa_exception_fp_ieee_underflow 0
		.amdhsa_exception_fp_ieee_inexact 0
		.amdhsa_exception_int_div_zero 0
	.end_amdhsa_kernel
	.section	.text._Z17flag_tails_kernelI6__halfiN10test_utils7greaterELj37ELj1EEvPT_Px,"axG",@progbits,_Z17flag_tails_kernelI6__halfiN10test_utils7greaterELj37ELj1EEvPT_Px,comdat
.Lfunc_end38:
	.size	_Z17flag_tails_kernelI6__halfiN10test_utils7greaterELj37ELj1EEvPT_Px, .Lfunc_end38-_Z17flag_tails_kernelI6__halfiN10test_utils7greaterELj37ELj1EEvPT_Px
                                        ; -- End function
	.set _Z17flag_tails_kernelI6__halfiN10test_utils7greaterELj37ELj1EEvPT_Px.num_vgpr, 4
	.set _Z17flag_tails_kernelI6__halfiN10test_utils7greaterELj37ELj1EEvPT_Px.num_agpr, 0
	.set _Z17flag_tails_kernelI6__halfiN10test_utils7greaterELj37ELj1EEvPT_Px.numbered_sgpr, 12
	.set _Z17flag_tails_kernelI6__halfiN10test_utils7greaterELj37ELj1EEvPT_Px.num_named_barrier, 0
	.set _Z17flag_tails_kernelI6__halfiN10test_utils7greaterELj37ELj1EEvPT_Px.private_seg_size, 0
	.set _Z17flag_tails_kernelI6__halfiN10test_utils7greaterELj37ELj1EEvPT_Px.uses_vcc, 1
	.set _Z17flag_tails_kernelI6__halfiN10test_utils7greaterELj37ELj1EEvPT_Px.uses_flat_scratch, 0
	.set _Z17flag_tails_kernelI6__halfiN10test_utils7greaterELj37ELj1EEvPT_Px.has_dyn_sized_stack, 0
	.set _Z17flag_tails_kernelI6__halfiN10test_utils7greaterELj37ELj1EEvPT_Px.has_recursion, 0
	.set _Z17flag_tails_kernelI6__halfiN10test_utils7greaterELj37ELj1EEvPT_Px.has_indirect_call, 0
	.section	.AMDGPU.csdata,"",@progbits
; Kernel info:
; codeLenInByte = 280
; TotalNumSgprs: 14
; NumVgprs: 4
; ScratchSize: 0
; MemoryBound: 0
; FloatMode: 240
; IeeeMode: 1
; LDSByteSize: 148 bytes/workgroup (compile time only)
; SGPRBlocks: 0
; VGPRBlocks: 0
; NumSGPRsForWavesPerEU: 14
; NumVGPRsForWavesPerEU: 4
; Occupancy: 16
; WaveLimiterHint : 0
; COMPUTE_PGM_RSRC2:SCRATCH_EN: 0
; COMPUTE_PGM_RSRC2:USER_SGPR: 6
; COMPUTE_PGM_RSRC2:TRAP_HANDLER: 0
; COMPUTE_PGM_RSRC2:TGID_X_EN: 1
; COMPUTE_PGM_RSRC2:TGID_Y_EN: 0
; COMPUTE_PGM_RSRC2:TGID_Z_EN: 0
; COMPUTE_PGM_RSRC2:TIDIG_COMP_CNT: 0
	.section	.text._Z17flag_tails_kernelIfi15custom_flag_op1IfELj37ELj1EEvPT_Px,"axG",@progbits,_Z17flag_tails_kernelIfi15custom_flag_op1IfELj37ELj1EEvPT_Px,comdat
	.protected	_Z17flag_tails_kernelIfi15custom_flag_op1IfELj37ELj1EEvPT_Px ; -- Begin function _Z17flag_tails_kernelIfi15custom_flag_op1IfELj37ELj1EEvPT_Px
	.globl	_Z17flag_tails_kernelIfi15custom_flag_op1IfELj37ELj1EEvPT_Px
	.p2align	8
	.type	_Z17flag_tails_kernelIfi15custom_flag_op1IfELj37ELj1EEvPT_Px,@function
_Z17flag_tails_kernelIfi15custom_flag_op1IfELj37ELj1EEvPT_Px: ; @_Z17flag_tails_kernelIfi15custom_flag_op1IfELj37ELj1EEvPT_Px
; %bb.0:
	s_load_dwordx4 s[8:11], s[4:5], 0x0
	s_mul_i32 s2, s6, 37
	s_mov_b32 s3, 0
	v_lshlrev_b32_e32 v2, 2, v0
	s_lshl_b64 s[0:1], s[2:3], 2
	s_waitcnt lgkmcnt(0)
	s_add_u32 s0, s8, s0
	s_addc_u32 s1, s9, s1
	s_bitcmp1_b32 s6, 0
	global_load_dword v1, v2, s[0:1]
	s_cselect_b32 s0, -1, 0
	s_and_b32 vcc_lo, exec_lo, s0
	v_cmp_ne_u32_e64 s0, 36, v0
	s_cbranch_vccz .LBB39_4
; %bb.1:
	s_mov_b32 s1, -1
	s_waitcnt vmcnt(0)
	ds_write_b32 v2, v1 offset:148
	s_waitcnt lgkmcnt(0)
	s_barrier
	buffer_gl0_inv
	s_and_saveexec_b32 s4, s0
	s_cbranch_execz .LBB39_3
; %bb.2:
	ds_read_b32 v3, v2 offset:152
	s_waitcnt lgkmcnt(0)
	v_cmp_eq_f32_e32 vcc_lo, v1, v3
	s_orn2_b32 s1, vcc_lo, exec_lo
.LBB39_3:
	s_or_b32 exec_lo, exec_lo, s4
	s_cbranch_execz .LBB39_5
	s_branch .LBB39_8
.LBB39_4:
                                        ; implicit-def: $sgpr1
.LBB39_5:
	s_add_i32 s0, s2, 37
	s_mov_b32 s1, 0
	s_waitcnt vmcnt(0)
	ds_write_b32 v2, v1 offset:148
	s_lshl_b64 s[0:1], s[0:1], 2
	s_add_u32 s0, s8, s0
	s_addc_u32 s1, s9, s1
	s_load_dword s0, s[0:1], 0x0
	s_waitcnt lgkmcnt(0)
	s_barrier
	buffer_gl0_inv
	v_mov_b32_e32 v3, s0
	s_mov_b32 s0, exec_lo
	v_cmpx_ne_u32_e32 36, v0
; %bb.6:
	ds_read_b32 v3, v2 offset:152
; %bb.7:
	s_or_b32 exec_lo, exec_lo, s0
	s_waitcnt lgkmcnt(0)
	v_cmp_eq_f32_e64 s1, v1, v3
.LBB39_8:
	s_mov_b32 s0, 0
	s_lshl_b64 s[2:3], s[2:3], 3
	v_lshlrev_b32_e32 v2, 3, v0
	v_cndmask_b32_e64 v0, 0, 1, s1
	s_waitcnt vmcnt(0)
	v_mov_b32_e32 v1, s0
	s_add_u32 s0, s10, s2
	s_addc_u32 s1, s11, s3
	global_store_dwordx2 v2, v[0:1], s[0:1]
	s_endpgm
	.section	.rodata,"a",@progbits
	.p2align	6, 0x0
	.amdhsa_kernel _Z17flag_tails_kernelIfi15custom_flag_op1IfELj37ELj1EEvPT_Px
		.amdhsa_group_segment_fixed_size 296
		.amdhsa_private_segment_fixed_size 0
		.amdhsa_kernarg_size 16
		.amdhsa_user_sgpr_count 6
		.amdhsa_user_sgpr_private_segment_buffer 1
		.amdhsa_user_sgpr_dispatch_ptr 0
		.amdhsa_user_sgpr_queue_ptr 0
		.amdhsa_user_sgpr_kernarg_segment_ptr 1
		.amdhsa_user_sgpr_dispatch_id 0
		.amdhsa_user_sgpr_flat_scratch_init 0
		.amdhsa_user_sgpr_private_segment_size 0
		.amdhsa_wavefront_size32 1
		.amdhsa_uses_dynamic_stack 0
		.amdhsa_system_sgpr_private_segment_wavefront_offset 0
		.amdhsa_system_sgpr_workgroup_id_x 1
		.amdhsa_system_sgpr_workgroup_id_y 0
		.amdhsa_system_sgpr_workgroup_id_z 0
		.amdhsa_system_sgpr_workgroup_info 0
		.amdhsa_system_vgpr_workitem_id 0
		.amdhsa_next_free_vgpr 4
		.amdhsa_next_free_sgpr 12
		.amdhsa_reserve_vcc 1
		.amdhsa_reserve_flat_scratch 0
		.amdhsa_float_round_mode_32 0
		.amdhsa_float_round_mode_16_64 0
		.amdhsa_float_denorm_mode_32 3
		.amdhsa_float_denorm_mode_16_64 3
		.amdhsa_dx10_clamp 1
		.amdhsa_ieee_mode 1
		.amdhsa_fp16_overflow 0
		.amdhsa_workgroup_processor_mode 1
		.amdhsa_memory_ordered 1
		.amdhsa_forward_progress 1
		.amdhsa_shared_vgpr_count 0
		.amdhsa_exception_fp_ieee_invalid_op 0
		.amdhsa_exception_fp_denorm_src 0
		.amdhsa_exception_fp_ieee_div_zero 0
		.amdhsa_exception_fp_ieee_overflow 0
		.amdhsa_exception_fp_ieee_underflow 0
		.amdhsa_exception_fp_ieee_inexact 0
		.amdhsa_exception_int_div_zero 0
	.end_amdhsa_kernel
	.section	.text._Z17flag_tails_kernelIfi15custom_flag_op1IfELj37ELj1EEvPT_Px,"axG",@progbits,_Z17flag_tails_kernelIfi15custom_flag_op1IfELj37ELj1EEvPT_Px,comdat
.Lfunc_end39:
	.size	_Z17flag_tails_kernelIfi15custom_flag_op1IfELj37ELj1EEvPT_Px, .Lfunc_end39-_Z17flag_tails_kernelIfi15custom_flag_op1IfELj37ELj1EEvPT_Px
                                        ; -- End function
	.set _Z17flag_tails_kernelIfi15custom_flag_op1IfELj37ELj1EEvPT_Px.num_vgpr, 4
	.set _Z17flag_tails_kernelIfi15custom_flag_op1IfELj37ELj1EEvPT_Px.num_agpr, 0
	.set _Z17flag_tails_kernelIfi15custom_flag_op1IfELj37ELj1EEvPT_Px.numbered_sgpr, 12
	.set _Z17flag_tails_kernelIfi15custom_flag_op1IfELj37ELj1EEvPT_Px.num_named_barrier, 0
	.set _Z17flag_tails_kernelIfi15custom_flag_op1IfELj37ELj1EEvPT_Px.private_seg_size, 0
	.set _Z17flag_tails_kernelIfi15custom_flag_op1IfELj37ELj1EEvPT_Px.uses_vcc, 1
	.set _Z17flag_tails_kernelIfi15custom_flag_op1IfELj37ELj1EEvPT_Px.uses_flat_scratch, 0
	.set _Z17flag_tails_kernelIfi15custom_flag_op1IfELj37ELj1EEvPT_Px.has_dyn_sized_stack, 0
	.set _Z17flag_tails_kernelIfi15custom_flag_op1IfELj37ELj1EEvPT_Px.has_recursion, 0
	.set _Z17flag_tails_kernelIfi15custom_flag_op1IfELj37ELj1EEvPT_Px.has_indirect_call, 0
	.section	.AMDGPU.csdata,"",@progbits
; Kernel info:
; codeLenInByte = 280
; TotalNumSgprs: 14
; NumVgprs: 4
; ScratchSize: 0
; MemoryBound: 0
; FloatMode: 240
; IeeeMode: 1
; LDSByteSize: 296 bytes/workgroup (compile time only)
; SGPRBlocks: 0
; VGPRBlocks: 0
; NumSGPRsForWavesPerEU: 14
; NumVGPRsForWavesPerEU: 4
; Occupancy: 16
; WaveLimiterHint : 0
; COMPUTE_PGM_RSRC2:SCRATCH_EN: 0
; COMPUTE_PGM_RSRC2:USER_SGPR: 6
; COMPUTE_PGM_RSRC2:TRAP_HANDLER: 0
; COMPUTE_PGM_RSRC2:TGID_X_EN: 1
; COMPUTE_PGM_RSRC2:TGID_Y_EN: 0
; COMPUTE_PGM_RSRC2:TGID_Z_EN: 0
; COMPUTE_PGM_RSRC2:TIDIG_COMP_CNT: 0
	.section	.text._Z17flag_tails_kernelIdjN10test_utils7greaterELj65ELj1EEvPT_Px,"axG",@progbits,_Z17flag_tails_kernelIdjN10test_utils7greaterELj65ELj1EEvPT_Px,comdat
	.protected	_Z17flag_tails_kernelIdjN10test_utils7greaterELj65ELj1EEvPT_Px ; -- Begin function _Z17flag_tails_kernelIdjN10test_utils7greaterELj65ELj1EEvPT_Px
	.globl	_Z17flag_tails_kernelIdjN10test_utils7greaterELj65ELj1EEvPT_Px
	.p2align	8
	.type	_Z17flag_tails_kernelIdjN10test_utils7greaterELj65ELj1EEvPT_Px,@function
_Z17flag_tails_kernelIdjN10test_utils7greaterELj65ELj1EEvPT_Px: ; @_Z17flag_tails_kernelIdjN10test_utils7greaterELj65ELj1EEvPT_Px
; %bb.0:
	s_load_dwordx4 s[8:11], s[4:5], 0x0
	s_mul_i32 s4, s6, 0x41
	s_mov_b32 s5, 0
	v_lshlrev_b32_e32 v5, 3, v0
	s_lshl_b64 s[2:3], s[4:5], 3
	s_waitcnt lgkmcnt(0)
	s_add_u32 s0, s8, s2
	s_addc_u32 s1, s9, s3
	s_bitcmp1_b32 s6, 0
	global_load_dwordx2 v[1:2], v5, s[0:1]
	s_cselect_b32 s0, -1, 0
	s_and_b32 vcc_lo, exec_lo, s0
	v_cmp_ne_u32_e64 s0, 64, v0
	s_cbranch_vccz .LBB40_4
; %bb.1:
	s_mov_b32 s1, -1
	s_waitcnt vmcnt(0)
	ds_write_b64 v5, v[1:2] offset:520
	s_waitcnt lgkmcnt(0)
	s_barrier
	buffer_gl0_inv
	s_and_saveexec_b32 s5, s0
	s_cbranch_execz .LBB40_3
; %bb.2:
	ds_read_b64 v[3:4], v5 offset:528
	s_waitcnt lgkmcnt(0)
	v_cmp_gt_f64_e32 vcc_lo, v[1:2], v[3:4]
	s_orn2_b32 s1, vcc_lo, exec_lo
.LBB40_3:
	s_or_b32 exec_lo, exec_lo, s5
	s_cbranch_execz .LBB40_5
	s_branch .LBB40_8
.LBB40_4:
                                        ; implicit-def: $sgpr1
.LBB40_5:
	s_add_i32 s0, s4, 0x41
	s_mov_b32 s1, 0
	s_waitcnt vmcnt(0)
	ds_write_b64 v5, v[1:2] offset:520
	s_lshl_b64 s[0:1], s[0:1], 3
	s_add_u32 s0, s8, s0
	s_addc_u32 s1, s9, s1
	s_load_dwordx2 s[0:1], s[0:1], 0x0
	s_waitcnt lgkmcnt(0)
	s_barrier
	buffer_gl0_inv
	v_mov_b32_e32 v4, s1
	v_mov_b32_e32 v3, s0
	s_mov_b32 s0, exec_lo
	v_cmpx_ne_u32_e32 64, v0
; %bb.6:
	ds_read_b64 v[3:4], v5 offset:528
; %bb.7:
	s_or_b32 exec_lo, exec_lo, s0
	s_waitcnt lgkmcnt(0)
	v_cmp_gt_f64_e64 s1, v[1:2], v[3:4]
.LBB40_8:
	s_mov_b32 s0, 0
	v_cndmask_b32_e64 v0, 0, 1, s1
	s_waitcnt vmcnt(0)
	v_mov_b32_e32 v1, s0
	s_add_u32 s0, s10, s2
	s_addc_u32 s1, s11, s3
	global_store_dwordx2 v5, v[0:1], s[0:1]
	s_endpgm
	.section	.rodata,"a",@progbits
	.p2align	6, 0x0
	.amdhsa_kernel _Z17flag_tails_kernelIdjN10test_utils7greaterELj65ELj1EEvPT_Px
		.amdhsa_group_segment_fixed_size 1040
		.amdhsa_private_segment_fixed_size 0
		.amdhsa_kernarg_size 16
		.amdhsa_user_sgpr_count 6
		.amdhsa_user_sgpr_private_segment_buffer 1
		.amdhsa_user_sgpr_dispatch_ptr 0
		.amdhsa_user_sgpr_queue_ptr 0
		.amdhsa_user_sgpr_kernarg_segment_ptr 1
		.amdhsa_user_sgpr_dispatch_id 0
		.amdhsa_user_sgpr_flat_scratch_init 0
		.amdhsa_user_sgpr_private_segment_size 0
		.amdhsa_wavefront_size32 1
		.amdhsa_uses_dynamic_stack 0
		.amdhsa_system_sgpr_private_segment_wavefront_offset 0
		.amdhsa_system_sgpr_workgroup_id_x 1
		.amdhsa_system_sgpr_workgroup_id_y 0
		.amdhsa_system_sgpr_workgroup_id_z 0
		.amdhsa_system_sgpr_workgroup_info 0
		.amdhsa_system_vgpr_workitem_id 0
		.amdhsa_next_free_vgpr 6
		.amdhsa_next_free_sgpr 12
		.amdhsa_reserve_vcc 1
		.amdhsa_reserve_flat_scratch 0
		.amdhsa_float_round_mode_32 0
		.amdhsa_float_round_mode_16_64 0
		.amdhsa_float_denorm_mode_32 3
		.amdhsa_float_denorm_mode_16_64 3
		.amdhsa_dx10_clamp 1
		.amdhsa_ieee_mode 1
		.amdhsa_fp16_overflow 0
		.amdhsa_workgroup_processor_mode 1
		.amdhsa_memory_ordered 1
		.amdhsa_forward_progress 1
		.amdhsa_shared_vgpr_count 0
		.amdhsa_exception_fp_ieee_invalid_op 0
		.amdhsa_exception_fp_denorm_src 0
		.amdhsa_exception_fp_ieee_div_zero 0
		.amdhsa_exception_fp_ieee_overflow 0
		.amdhsa_exception_fp_ieee_underflow 0
		.amdhsa_exception_fp_ieee_inexact 0
		.amdhsa_exception_int_div_zero 0
	.end_amdhsa_kernel
	.section	.text._Z17flag_tails_kernelIdjN10test_utils7greaterELj65ELj1EEvPT_Px,"axG",@progbits,_Z17flag_tails_kernelIdjN10test_utils7greaterELj65ELj1EEvPT_Px,comdat
.Lfunc_end40:
	.size	_Z17flag_tails_kernelIdjN10test_utils7greaterELj65ELj1EEvPT_Px, .Lfunc_end40-_Z17flag_tails_kernelIdjN10test_utils7greaterELj65ELj1EEvPT_Px
                                        ; -- End function
	.set _Z17flag_tails_kernelIdjN10test_utils7greaterELj65ELj1EEvPT_Px.num_vgpr, 6
	.set _Z17flag_tails_kernelIdjN10test_utils7greaterELj65ELj1EEvPT_Px.num_agpr, 0
	.set _Z17flag_tails_kernelIdjN10test_utils7greaterELj65ELj1EEvPT_Px.numbered_sgpr, 12
	.set _Z17flag_tails_kernelIdjN10test_utils7greaterELj65ELj1EEvPT_Px.num_named_barrier, 0
	.set _Z17flag_tails_kernelIdjN10test_utils7greaterELj65ELj1EEvPT_Px.private_seg_size, 0
	.set _Z17flag_tails_kernelIdjN10test_utils7greaterELj65ELj1EEvPT_Px.uses_vcc, 1
	.set _Z17flag_tails_kernelIdjN10test_utils7greaterELj65ELj1EEvPT_Px.uses_flat_scratch, 0
	.set _Z17flag_tails_kernelIdjN10test_utils7greaterELj65ELj1EEvPT_Px.has_dyn_sized_stack, 0
	.set _Z17flag_tails_kernelIdjN10test_utils7greaterELj65ELj1EEvPT_Px.has_recursion, 0
	.set _Z17flag_tails_kernelIdjN10test_utils7greaterELj65ELj1EEvPT_Px.has_indirect_call, 0
	.section	.AMDGPU.csdata,"",@progbits
; Kernel info:
; codeLenInByte = 284
; TotalNumSgprs: 14
; NumVgprs: 6
; ScratchSize: 0
; MemoryBound: 0
; FloatMode: 240
; IeeeMode: 1
; LDSByteSize: 1040 bytes/workgroup (compile time only)
; SGPRBlocks: 0
; VGPRBlocks: 0
; NumSGPRsForWavesPerEU: 14
; NumVGPRsForWavesPerEU: 6
; Occupancy: 16
; WaveLimiterHint : 0
; COMPUTE_PGM_RSRC2:SCRATCH_EN: 0
; COMPUTE_PGM_RSRC2:USER_SGPR: 6
; COMPUTE_PGM_RSRC2:TRAP_HANDLER: 0
; COMPUTE_PGM_RSRC2:TGID_X_EN: 1
; COMPUTE_PGM_RSRC2:TGID_Y_EN: 0
; COMPUTE_PGM_RSRC2:TGID_Z_EN: 0
; COMPUTE_PGM_RSRC2:TIDIG_COMP_CNT: 0
	.section	.text._Z17flag_tails_kernelIib15custom_flag_op1IiELj256ELj1EEvPT_Px,"axG",@progbits,_Z17flag_tails_kernelIib15custom_flag_op1IiELj256ELj1EEvPT_Px,comdat
	.protected	_Z17flag_tails_kernelIib15custom_flag_op1IiELj256ELj1EEvPT_Px ; -- Begin function _Z17flag_tails_kernelIib15custom_flag_op1IiELj256ELj1EEvPT_Px
	.globl	_Z17flag_tails_kernelIib15custom_flag_op1IiELj256ELj1EEvPT_Px
	.p2align	8
	.type	_Z17flag_tails_kernelIib15custom_flag_op1IiELj256ELj1EEvPT_Px,@function
_Z17flag_tails_kernelIib15custom_flag_op1IiELj256ELj1EEvPT_Px: ; @_Z17flag_tails_kernelIib15custom_flag_op1IiELj256ELj1EEvPT_Px
; %bb.0:
	s_load_dwordx4 s[0:3], s[4:5], 0x0
	s_lshl_b32 s4, s6, 8
	s_mov_b32 s5, 0
	v_lshlrev_b32_e32 v2, 2, v0
	s_lshl_b64 s[8:9], s[4:5], 2
	s_waitcnt lgkmcnt(0)
	s_add_u32 s8, s0, s8
	s_addc_u32 s9, s1, s9
	s_bitcmp1_b32 s6, 0
	global_load_dword v1, v2, s[8:9]
	s_cselect_b32 s0, -1, 0
	s_and_b32 vcc_lo, exec_lo, s0
	v_cmp_ne_u32_e64 s0, 0xff, v0
	s_cbranch_vccz .LBB41_4
; %bb.1:
	s_mov_b32 s1, -1
	s_waitcnt vmcnt(0)
	ds_write_b32 v2, v1 offset:1024
	s_waitcnt lgkmcnt(0)
	s_barrier
	buffer_gl0_inv
	s_and_saveexec_b32 s6, s0
	s_cbranch_execz .LBB41_3
; %bb.2:
	ds_read_b32 v3, v2 offset:1028
	s_waitcnt lgkmcnt(0)
	v_cmp_eq_u32_e32 vcc_lo, v1, v3
	s_orn2_b32 s1, vcc_lo, exec_lo
.LBB41_3:
	s_or_b32 exec_lo, exec_lo, s6
	s_cbranch_execz .LBB41_5
	s_branch .LBB41_8
.LBB41_4:
                                        ; implicit-def: $sgpr1
.LBB41_5:
	s_load_dword s0, s[8:9], 0x400
	s_waitcnt vmcnt(0)
	ds_write_b32 v2, v1 offset:1024
	s_waitcnt lgkmcnt(0)
	s_barrier
	buffer_gl0_inv
	v_mov_b32_e32 v3, s0
	s_mov_b32 s0, exec_lo
	v_cmpx_ne_u32_e32 0xff, v0
; %bb.6:
	ds_read_b32 v3, v2 offset:1028
; %bb.7:
	s_or_b32 exec_lo, exec_lo, s0
	s_waitcnt lgkmcnt(0)
	v_cmp_eq_u32_e64 s1, v1, v3
.LBB41_8:
	s_mov_b32 s0, 0
	s_lshl_b64 s[4:5], s[4:5], 3
	v_lshlrev_b32_e32 v2, 3, v0
	v_cndmask_b32_e64 v0, 0, 1, s1
	s_waitcnt vmcnt(0)
	v_mov_b32_e32 v1, s0
	s_add_u32 s0, s2, s4
	s_addc_u32 s1, s3, s5
	global_store_dwordx2 v2, v[0:1], s[0:1]
	s_endpgm
	.section	.rodata,"a",@progbits
	.p2align	6, 0x0
	.amdhsa_kernel _Z17flag_tails_kernelIib15custom_flag_op1IiELj256ELj1EEvPT_Px
		.amdhsa_group_segment_fixed_size 2048
		.amdhsa_private_segment_fixed_size 0
		.amdhsa_kernarg_size 16
		.amdhsa_user_sgpr_count 6
		.amdhsa_user_sgpr_private_segment_buffer 1
		.amdhsa_user_sgpr_dispatch_ptr 0
		.amdhsa_user_sgpr_queue_ptr 0
		.amdhsa_user_sgpr_kernarg_segment_ptr 1
		.amdhsa_user_sgpr_dispatch_id 0
		.amdhsa_user_sgpr_flat_scratch_init 0
		.amdhsa_user_sgpr_private_segment_size 0
		.amdhsa_wavefront_size32 1
		.amdhsa_uses_dynamic_stack 0
		.amdhsa_system_sgpr_private_segment_wavefront_offset 0
		.amdhsa_system_sgpr_workgroup_id_x 1
		.amdhsa_system_sgpr_workgroup_id_y 0
		.amdhsa_system_sgpr_workgroup_id_z 0
		.amdhsa_system_sgpr_workgroup_info 0
		.amdhsa_system_vgpr_workitem_id 0
		.amdhsa_next_free_vgpr 4
		.amdhsa_next_free_sgpr 10
		.amdhsa_reserve_vcc 1
		.amdhsa_reserve_flat_scratch 0
		.amdhsa_float_round_mode_32 0
		.amdhsa_float_round_mode_16_64 0
		.amdhsa_float_denorm_mode_32 3
		.amdhsa_float_denorm_mode_16_64 3
		.amdhsa_dx10_clamp 1
		.amdhsa_ieee_mode 1
		.amdhsa_fp16_overflow 0
		.amdhsa_workgroup_processor_mode 1
		.amdhsa_memory_ordered 1
		.amdhsa_forward_progress 1
		.amdhsa_shared_vgpr_count 0
		.amdhsa_exception_fp_ieee_invalid_op 0
		.amdhsa_exception_fp_denorm_src 0
		.amdhsa_exception_fp_ieee_div_zero 0
		.amdhsa_exception_fp_ieee_overflow 0
		.amdhsa_exception_fp_ieee_underflow 0
		.amdhsa_exception_fp_ieee_inexact 0
		.amdhsa_exception_int_div_zero 0
	.end_amdhsa_kernel
	.section	.text._Z17flag_tails_kernelIib15custom_flag_op1IiELj256ELj1EEvPT_Px,"axG",@progbits,_Z17flag_tails_kernelIib15custom_flag_op1IiELj256ELj1EEvPT_Px,comdat
.Lfunc_end41:
	.size	_Z17flag_tails_kernelIib15custom_flag_op1IiELj256ELj1EEvPT_Px, .Lfunc_end41-_Z17flag_tails_kernelIib15custom_flag_op1IiELj256ELj1EEvPT_Px
                                        ; -- End function
	.set _Z17flag_tails_kernelIib15custom_flag_op1IiELj256ELj1EEvPT_Px.num_vgpr, 4
	.set _Z17flag_tails_kernelIib15custom_flag_op1IiELj256ELj1EEvPT_Px.num_agpr, 0
	.set _Z17flag_tails_kernelIib15custom_flag_op1IiELj256ELj1EEvPT_Px.numbered_sgpr, 10
	.set _Z17flag_tails_kernelIib15custom_flag_op1IiELj256ELj1EEvPT_Px.num_named_barrier, 0
	.set _Z17flag_tails_kernelIib15custom_flag_op1IiELj256ELj1EEvPT_Px.private_seg_size, 0
	.set _Z17flag_tails_kernelIib15custom_flag_op1IiELj256ELj1EEvPT_Px.uses_vcc, 1
	.set _Z17flag_tails_kernelIib15custom_flag_op1IiELj256ELj1EEvPT_Px.uses_flat_scratch, 0
	.set _Z17flag_tails_kernelIib15custom_flag_op1IiELj256ELj1EEvPT_Px.has_dyn_sized_stack, 0
	.set _Z17flag_tails_kernelIib15custom_flag_op1IiELj256ELj1EEvPT_Px.has_recursion, 0
	.set _Z17flag_tails_kernelIib15custom_flag_op1IiELj256ELj1EEvPT_Px.has_indirect_call, 0
	.section	.AMDGPU.csdata,"",@progbits
; Kernel info:
; codeLenInByte = 268
; TotalNumSgprs: 12
; NumVgprs: 4
; ScratchSize: 0
; MemoryBound: 0
; FloatMode: 240
; IeeeMode: 1
; LDSByteSize: 2048 bytes/workgroup (compile time only)
; SGPRBlocks: 0
; VGPRBlocks: 0
; NumSGPRsForWavesPerEU: 12
; NumVGPRsForWavesPerEU: 4
; Occupancy: 16
; WaveLimiterHint : 0
; COMPUTE_PGM_RSRC2:SCRATCH_EN: 0
; COMPUTE_PGM_RSRC2:USER_SGPR: 6
; COMPUTE_PGM_RSRC2:TRAP_HANDLER: 0
; COMPUTE_PGM_RSRC2:TGID_X_EN: 1
; COMPUTE_PGM_RSRC2:TGID_Y_EN: 0
; COMPUTE_PGM_RSRC2:TGID_Z_EN: 0
; COMPUTE_PGM_RSRC2:TIDIG_COMP_CNT: 0
	.section	.text._Z17flag_tails_kernelIccN10test_utils10less_equalELj1024ELj1EEvPT_Px,"axG",@progbits,_Z17flag_tails_kernelIccN10test_utils10less_equalELj1024ELj1EEvPT_Px,comdat
	.protected	_Z17flag_tails_kernelIccN10test_utils10less_equalELj1024ELj1EEvPT_Px ; -- Begin function _Z17flag_tails_kernelIccN10test_utils10less_equalELj1024ELj1EEvPT_Px
	.globl	_Z17flag_tails_kernelIccN10test_utils10less_equalELj1024ELj1EEvPT_Px
	.p2align	8
	.type	_Z17flag_tails_kernelIccN10test_utils10less_equalELj1024ELj1EEvPT_Px,@function
_Z17flag_tails_kernelIccN10test_utils10less_equalELj1024ELj1EEvPT_Px: ; @_Z17flag_tails_kernelIccN10test_utils10less_equalELj1024ELj1EEvPT_Px
; %bb.0:
	s_load_dwordx4 s[0:3], s[4:5], 0x0
	s_lshl_b32 s4, s6, 10
	s_mov_b32 s5, 0
	s_waitcnt lgkmcnt(0)
	s_add_u32 s8, s0, s4
	s_addc_u32 s9, s1, 0
	s_bitcmp1_b32 s6, 0
	global_load_sbyte v1, v0, s[8:9]
	s_cselect_b32 s0, -1, 0
	s_and_b32 vcc_lo, exec_lo, s0
	v_cmp_ne_u32_e64 s0, 0x3ff, v0
	s_cbranch_vccz .LBB42_4
; %bb.1:
	s_mov_b32 s1, -1
	s_waitcnt vmcnt(0)
	ds_write_b8 v0, v1 offset:1024
	s_waitcnt lgkmcnt(0)
	s_barrier
	buffer_gl0_inv
	s_and_saveexec_b32 s6, s0
	s_cbranch_execz .LBB42_3
; %bb.2:
	ds_read_i8 v2, v0 offset:1025
	s_waitcnt lgkmcnt(0)
	v_cmp_le_i16_e32 vcc_lo, v1, v2
	s_orn2_b32 s1, vcc_lo, exec_lo
.LBB42_3:
	s_or_b32 exec_lo, exec_lo, s6
	s_cbranch_execz .LBB42_5
	s_branch .LBB42_8
.LBB42_4:
                                        ; implicit-def: $sgpr1
.LBB42_5:
	v_mov_b32_e32 v2, 0
	s_mov_b32 s0, exec_lo
	s_waitcnt vmcnt(0)
	ds_write_b8 v0, v1 offset:1024
	global_load_ubyte v2, v2, s[8:9] offset:1024
	s_waitcnt vmcnt(0) lgkmcnt(0)
	s_barrier
	buffer_gl0_inv
	v_cmpx_ne_u32_e32 0x3ff, v0
; %bb.6:
	ds_read_u8 v2, v0 offset:1025
; %bb.7:
	s_or_b32 exec_lo, exec_lo, s0
	s_waitcnt lgkmcnt(0)
	v_cmp_le_i16_sdwa s1, v1, sext(v2) src0_sel:DWORD src1_sel:BYTE_0
.LBB42_8:
	s_mov_b32 s0, 0
	s_lshl_b64 s[4:5], s[4:5], 3
	v_lshlrev_b32_e32 v2, 3, v0
	v_cndmask_b32_e64 v0, 0, 1, s1
	s_waitcnt vmcnt(0)
	v_mov_b32_e32 v1, s0
	s_add_u32 s0, s2, s4
	s_addc_u32 s1, s3, s5
	global_store_dwordx2 v2, v[0:1], s[0:1]
	s_endpgm
	.section	.rodata,"a",@progbits
	.p2align	6, 0x0
	.amdhsa_kernel _Z17flag_tails_kernelIccN10test_utils10less_equalELj1024ELj1EEvPT_Px
		.amdhsa_group_segment_fixed_size 2048
		.amdhsa_private_segment_fixed_size 0
		.amdhsa_kernarg_size 16
		.amdhsa_user_sgpr_count 6
		.amdhsa_user_sgpr_private_segment_buffer 1
		.amdhsa_user_sgpr_dispatch_ptr 0
		.amdhsa_user_sgpr_queue_ptr 0
		.amdhsa_user_sgpr_kernarg_segment_ptr 1
		.amdhsa_user_sgpr_dispatch_id 0
		.amdhsa_user_sgpr_flat_scratch_init 0
		.amdhsa_user_sgpr_private_segment_size 0
		.amdhsa_wavefront_size32 1
		.amdhsa_uses_dynamic_stack 0
		.amdhsa_system_sgpr_private_segment_wavefront_offset 0
		.amdhsa_system_sgpr_workgroup_id_x 1
		.amdhsa_system_sgpr_workgroup_id_y 0
		.amdhsa_system_sgpr_workgroup_id_z 0
		.amdhsa_system_sgpr_workgroup_info 0
		.amdhsa_system_vgpr_workitem_id 0
		.amdhsa_next_free_vgpr 3
		.amdhsa_next_free_sgpr 10
		.amdhsa_reserve_vcc 1
		.amdhsa_reserve_flat_scratch 0
		.amdhsa_float_round_mode_32 0
		.amdhsa_float_round_mode_16_64 0
		.amdhsa_float_denorm_mode_32 3
		.amdhsa_float_denorm_mode_16_64 3
		.amdhsa_dx10_clamp 1
		.amdhsa_ieee_mode 1
		.amdhsa_fp16_overflow 0
		.amdhsa_workgroup_processor_mode 1
		.amdhsa_memory_ordered 1
		.amdhsa_forward_progress 1
		.amdhsa_shared_vgpr_count 0
		.amdhsa_exception_fp_ieee_invalid_op 0
		.amdhsa_exception_fp_denorm_src 0
		.amdhsa_exception_fp_ieee_div_zero 0
		.amdhsa_exception_fp_ieee_overflow 0
		.amdhsa_exception_fp_ieee_underflow 0
		.amdhsa_exception_fp_ieee_inexact 0
		.amdhsa_exception_int_div_zero 0
	.end_amdhsa_kernel
	.section	.text._Z17flag_tails_kernelIccN10test_utils10less_equalELj1024ELj1EEvPT_Px,"axG",@progbits,_Z17flag_tails_kernelIccN10test_utils10less_equalELj1024ELj1EEvPT_Px,comdat
.Lfunc_end42:
	.size	_Z17flag_tails_kernelIccN10test_utils10less_equalELj1024ELj1EEvPT_Px, .Lfunc_end42-_Z17flag_tails_kernelIccN10test_utils10less_equalELj1024ELj1EEvPT_Px
                                        ; -- End function
	.set _Z17flag_tails_kernelIccN10test_utils10less_equalELj1024ELj1EEvPT_Px.num_vgpr, 3
	.set _Z17flag_tails_kernelIccN10test_utils10less_equalELj1024ELj1EEvPT_Px.num_agpr, 0
	.set _Z17flag_tails_kernelIccN10test_utils10less_equalELj1024ELj1EEvPT_Px.numbered_sgpr, 10
	.set _Z17flag_tails_kernelIccN10test_utils10less_equalELj1024ELj1EEvPT_Px.num_named_barrier, 0
	.set _Z17flag_tails_kernelIccN10test_utils10less_equalELj1024ELj1EEvPT_Px.private_seg_size, 0
	.set _Z17flag_tails_kernelIccN10test_utils10less_equalELj1024ELj1EEvPT_Px.uses_vcc, 1
	.set _Z17flag_tails_kernelIccN10test_utils10less_equalELj1024ELj1EEvPT_Px.uses_flat_scratch, 0
	.set _Z17flag_tails_kernelIccN10test_utils10less_equalELj1024ELj1EEvPT_Px.has_dyn_sized_stack, 0
	.set _Z17flag_tails_kernelIccN10test_utils10less_equalELj1024ELj1EEvPT_Px.has_recursion, 0
	.set _Z17flag_tails_kernelIccN10test_utils10less_equalELj1024ELj1EEvPT_Px.has_indirect_call, 0
	.section	.AMDGPU.csdata,"",@progbits
; Kernel info:
; codeLenInByte = 260
; TotalNumSgprs: 12
; NumVgprs: 3
; ScratchSize: 0
; MemoryBound: 0
; FloatMode: 240
; IeeeMode: 1
; LDSByteSize: 2048 bytes/workgroup (compile time only)
; SGPRBlocks: 0
; VGPRBlocks: 0
; NumSGPRsForWavesPerEU: 12
; NumVGPRsForWavesPerEU: 3
; Occupancy: 16
; WaveLimiterHint : 0
; COMPUTE_PGM_RSRC2:SCRATCH_EN: 0
; COMPUTE_PGM_RSRC2:USER_SGPR: 6
; COMPUTE_PGM_RSRC2:TRAP_HANDLER: 0
; COMPUTE_PGM_RSRC2:TGID_X_EN: 1
; COMPUTE_PGM_RSRC2:TGID_Y_EN: 0
; COMPUTE_PGM_RSRC2:TGID_Z_EN: 0
; COMPUTE_PGM_RSRC2:TIDIG_COMP_CNT: 0
	.section	.text._Z17flag_tails_kernelI12hip_bfloat16iN10test_utils4lessELj256ELj1EEvPT_Px,"axG",@progbits,_Z17flag_tails_kernelI12hip_bfloat16iN10test_utils4lessELj256ELj1EEvPT_Px,comdat
	.protected	_Z17flag_tails_kernelI12hip_bfloat16iN10test_utils4lessELj256ELj1EEvPT_Px ; -- Begin function _Z17flag_tails_kernelI12hip_bfloat16iN10test_utils4lessELj256ELj1EEvPT_Px
	.globl	_Z17flag_tails_kernelI12hip_bfloat16iN10test_utils4lessELj256ELj1EEvPT_Px
	.p2align	8
	.type	_Z17flag_tails_kernelI12hip_bfloat16iN10test_utils4lessELj256ELj1EEvPT_Px,@function
_Z17flag_tails_kernelI12hip_bfloat16iN10test_utils4lessELj256ELj1EEvPT_Px: ; @_Z17flag_tails_kernelI12hip_bfloat16iN10test_utils4lessELj256ELj1EEvPT_Px
; %bb.0:
	s_load_dwordx4 s[0:3], s[4:5], 0x0
	s_lshl_b32 s4, s6, 8
	s_mov_b32 s5, 0
	v_lshlrev_b32_e32 v2, 1, v0
	s_lshl_b64 s[8:9], s[4:5], 1
	s_waitcnt lgkmcnt(0)
	s_add_u32 s8, s0, s8
	s_addc_u32 s9, s1, s9
	s_bitcmp1_b32 s6, 0
	global_load_ushort v1, v2, s[8:9]
	s_cselect_b32 s0, -1, 0
	s_and_b32 vcc_lo, exec_lo, s0
	v_cmp_ne_u32_e64 s0, 0xff, v0
	s_cbranch_vccz .LBB43_4
; %bb.1:
	s_mov_b32 s1, -1
	s_waitcnt vmcnt(0)
	ds_write_b16 v2, v1 offset:512
	s_waitcnt lgkmcnt(0)
	s_barrier
	buffer_gl0_inv
	s_and_saveexec_b32 s6, s0
	s_cbranch_execz .LBB43_3
; %bb.2:
	ds_read_u16 v3, v2 offset:514
	v_lshlrev_b32_e32 v4, 16, v1
	s_waitcnt lgkmcnt(0)
	v_lshlrev_b32_e32 v3, 16, v3
	v_cmp_lt_f32_e32 vcc_lo, v4, v3
	s_orn2_b32 s1, vcc_lo, exec_lo
.LBB43_3:
	s_or_b32 exec_lo, exec_lo, s6
	s_cbranch_execz .LBB43_5
	s_branch .LBB43_8
.LBB43_4:
                                        ; implicit-def: $sgpr1
.LBB43_5:
	v_mov_b32_e32 v3, 0
	s_mov_b32 s0, exec_lo
	s_waitcnt vmcnt(0)
	ds_write_b16 v2, v1 offset:512
	global_load_ushort v3, v3, s[8:9] offset:512
	s_waitcnt vmcnt(0) lgkmcnt(0)
	s_barrier
	buffer_gl0_inv
	v_cmpx_ne_u32_e32 0xff, v0
; %bb.6:
	ds_read_u16 v3, v2 offset:514
; %bb.7:
	s_or_b32 exec_lo, exec_lo, s0
	v_lshlrev_b32_e32 v1, 16, v1
	s_waitcnt lgkmcnt(0)
	v_lshlrev_b32_e32 v2, 16, v3
	v_cmp_lt_f32_e64 s1, v1, v2
.LBB43_8:
	s_mov_b32 s0, 0
	s_lshl_b64 s[4:5], s[4:5], 3
	v_lshlrev_b32_e32 v2, 3, v0
	v_cndmask_b32_e64 v0, 0, 1, s1
	s_waitcnt vmcnt(0)
	v_mov_b32_e32 v1, s0
	s_add_u32 s0, s2, s4
	s_addc_u32 s1, s3, s5
	global_store_dwordx2 v2, v[0:1], s[0:1]
	s_endpgm
	.section	.rodata,"a",@progbits
	.p2align	6, 0x0
	.amdhsa_kernel _Z17flag_tails_kernelI12hip_bfloat16iN10test_utils4lessELj256ELj1EEvPT_Px
		.amdhsa_group_segment_fixed_size 1024
		.amdhsa_private_segment_fixed_size 0
		.amdhsa_kernarg_size 16
		.amdhsa_user_sgpr_count 6
		.amdhsa_user_sgpr_private_segment_buffer 1
		.amdhsa_user_sgpr_dispatch_ptr 0
		.amdhsa_user_sgpr_queue_ptr 0
		.amdhsa_user_sgpr_kernarg_segment_ptr 1
		.amdhsa_user_sgpr_dispatch_id 0
		.amdhsa_user_sgpr_flat_scratch_init 0
		.amdhsa_user_sgpr_private_segment_size 0
		.amdhsa_wavefront_size32 1
		.amdhsa_uses_dynamic_stack 0
		.amdhsa_system_sgpr_private_segment_wavefront_offset 0
		.amdhsa_system_sgpr_workgroup_id_x 1
		.amdhsa_system_sgpr_workgroup_id_y 0
		.amdhsa_system_sgpr_workgroup_id_z 0
		.amdhsa_system_sgpr_workgroup_info 0
		.amdhsa_system_vgpr_workitem_id 0
		.amdhsa_next_free_vgpr 5
		.amdhsa_next_free_sgpr 10
		.amdhsa_reserve_vcc 1
		.amdhsa_reserve_flat_scratch 0
		.amdhsa_float_round_mode_32 0
		.amdhsa_float_round_mode_16_64 0
		.amdhsa_float_denorm_mode_32 3
		.amdhsa_float_denorm_mode_16_64 3
		.amdhsa_dx10_clamp 1
		.amdhsa_ieee_mode 1
		.amdhsa_fp16_overflow 0
		.amdhsa_workgroup_processor_mode 1
		.amdhsa_memory_ordered 1
		.amdhsa_forward_progress 1
		.amdhsa_shared_vgpr_count 0
		.amdhsa_exception_fp_ieee_invalid_op 0
		.amdhsa_exception_fp_denorm_src 0
		.amdhsa_exception_fp_ieee_div_zero 0
		.amdhsa_exception_fp_ieee_overflow 0
		.amdhsa_exception_fp_ieee_underflow 0
		.amdhsa_exception_fp_ieee_inexact 0
		.amdhsa_exception_int_div_zero 0
	.end_amdhsa_kernel
	.section	.text._Z17flag_tails_kernelI12hip_bfloat16iN10test_utils4lessELj256ELj1EEvPT_Px,"axG",@progbits,_Z17flag_tails_kernelI12hip_bfloat16iN10test_utils4lessELj256ELj1EEvPT_Px,comdat
.Lfunc_end43:
	.size	_Z17flag_tails_kernelI12hip_bfloat16iN10test_utils4lessELj256ELj1EEvPT_Px, .Lfunc_end43-_Z17flag_tails_kernelI12hip_bfloat16iN10test_utils4lessELj256ELj1EEvPT_Px
                                        ; -- End function
	.set _Z17flag_tails_kernelI12hip_bfloat16iN10test_utils4lessELj256ELj1EEvPT_Px.num_vgpr, 5
	.set _Z17flag_tails_kernelI12hip_bfloat16iN10test_utils4lessELj256ELj1EEvPT_Px.num_agpr, 0
	.set _Z17flag_tails_kernelI12hip_bfloat16iN10test_utils4lessELj256ELj1EEvPT_Px.numbered_sgpr, 10
	.set _Z17flag_tails_kernelI12hip_bfloat16iN10test_utils4lessELj256ELj1EEvPT_Px.num_named_barrier, 0
	.set _Z17flag_tails_kernelI12hip_bfloat16iN10test_utils4lessELj256ELj1EEvPT_Px.private_seg_size, 0
	.set _Z17flag_tails_kernelI12hip_bfloat16iN10test_utils4lessELj256ELj1EEvPT_Px.uses_vcc, 1
	.set _Z17flag_tails_kernelI12hip_bfloat16iN10test_utils4lessELj256ELj1EEvPT_Px.uses_flat_scratch, 0
	.set _Z17flag_tails_kernelI12hip_bfloat16iN10test_utils4lessELj256ELj1EEvPT_Px.has_dyn_sized_stack, 0
	.set _Z17flag_tails_kernelI12hip_bfloat16iN10test_utils4lessELj256ELj1EEvPT_Px.has_recursion, 0
	.set _Z17flag_tails_kernelI12hip_bfloat16iN10test_utils4lessELj256ELj1EEvPT_Px.has_indirect_call, 0
	.section	.AMDGPU.csdata,"",@progbits
; Kernel info:
; codeLenInByte = 284
; TotalNumSgprs: 12
; NumVgprs: 5
; ScratchSize: 0
; MemoryBound: 0
; FloatMode: 240
; IeeeMode: 1
; LDSByteSize: 1024 bytes/workgroup (compile time only)
; SGPRBlocks: 0
; VGPRBlocks: 0
; NumSGPRsForWavesPerEU: 12
; NumVGPRsForWavesPerEU: 5
; Occupancy: 16
; WaveLimiterHint : 0
; COMPUTE_PGM_RSRC2:SCRATCH_EN: 0
; COMPUTE_PGM_RSRC2:USER_SGPR: 6
; COMPUTE_PGM_RSRC2:TRAP_HANDLER: 0
; COMPUTE_PGM_RSRC2:TGID_X_EN: 1
; COMPUTE_PGM_RSRC2:TGID_Y_EN: 0
; COMPUTE_PGM_RSRC2:TGID_Z_EN: 0
; COMPUTE_PGM_RSRC2:TIDIG_COMP_CNT: 0
	.section	.text._Z17flag_tails_kernelI6__halfiN10test_utils4lessELj256ELj1EEvPT_Px,"axG",@progbits,_Z17flag_tails_kernelI6__halfiN10test_utils4lessELj256ELj1EEvPT_Px,comdat
	.protected	_Z17flag_tails_kernelI6__halfiN10test_utils4lessELj256ELj1EEvPT_Px ; -- Begin function _Z17flag_tails_kernelI6__halfiN10test_utils4lessELj256ELj1EEvPT_Px
	.globl	_Z17flag_tails_kernelI6__halfiN10test_utils4lessELj256ELj1EEvPT_Px
	.p2align	8
	.type	_Z17flag_tails_kernelI6__halfiN10test_utils4lessELj256ELj1EEvPT_Px,@function
_Z17flag_tails_kernelI6__halfiN10test_utils4lessELj256ELj1EEvPT_Px: ; @_Z17flag_tails_kernelI6__halfiN10test_utils4lessELj256ELj1EEvPT_Px
; %bb.0:
	s_load_dwordx4 s[0:3], s[4:5], 0x0
	s_lshl_b32 s4, s6, 8
	s_mov_b32 s5, 0
	v_lshlrev_b32_e32 v2, 1, v0
	s_lshl_b64 s[8:9], s[4:5], 1
	s_waitcnt lgkmcnt(0)
	s_add_u32 s8, s0, s8
	s_addc_u32 s9, s1, s9
	s_bitcmp1_b32 s6, 0
	global_load_ushort v1, v2, s[8:9]
	s_cselect_b32 s0, -1, 0
	s_and_b32 vcc_lo, exec_lo, s0
	v_cmp_ne_u32_e64 s0, 0xff, v0
	s_cbranch_vccz .LBB44_4
; %bb.1:
	s_mov_b32 s1, -1
	s_waitcnt vmcnt(0)
	ds_write_b16 v2, v1 offset:512
	s_waitcnt lgkmcnt(0)
	s_barrier
	buffer_gl0_inv
	s_and_saveexec_b32 s6, s0
	s_cbranch_execz .LBB44_3
; %bb.2:
	ds_read_u16 v3, v2 offset:514
	s_waitcnt lgkmcnt(0)
	v_cmp_gt_f16_e32 vcc_lo, v3, v1
	s_orn2_b32 s1, vcc_lo, exec_lo
.LBB44_3:
	s_or_b32 exec_lo, exec_lo, s6
	s_cbranch_execz .LBB44_5
	s_branch .LBB44_8
.LBB44_4:
                                        ; implicit-def: $sgpr1
.LBB44_5:
	v_mov_b32_e32 v3, 0
	s_mov_b32 s0, exec_lo
	s_waitcnt vmcnt(0)
	ds_write_b16 v2, v1 offset:512
	global_load_ushort v3, v3, s[8:9] offset:512
	s_waitcnt vmcnt(0) lgkmcnt(0)
	s_barrier
	buffer_gl0_inv
	v_cmpx_ne_u32_e32 0xff, v0
; %bb.6:
	ds_read_u16 v3, v2 offset:514
; %bb.7:
	s_or_b32 exec_lo, exec_lo, s0
	s_waitcnt lgkmcnt(0)
	v_cmp_gt_f16_e64 s1, v3, v1
.LBB44_8:
	s_mov_b32 s0, 0
	s_lshl_b64 s[4:5], s[4:5], 3
	v_lshlrev_b32_e32 v2, 3, v0
	v_cndmask_b32_e64 v0, 0, 1, s1
	s_waitcnt vmcnt(0)
	v_mov_b32_e32 v1, s0
	s_add_u32 s0, s2, s4
	s_addc_u32 s1, s3, s5
	global_store_dwordx2 v2, v[0:1], s[0:1]
	s_endpgm
	.section	.rodata,"a",@progbits
	.p2align	6, 0x0
	.amdhsa_kernel _Z17flag_tails_kernelI6__halfiN10test_utils4lessELj256ELj1EEvPT_Px
		.amdhsa_group_segment_fixed_size 1024
		.amdhsa_private_segment_fixed_size 0
		.amdhsa_kernarg_size 16
		.amdhsa_user_sgpr_count 6
		.amdhsa_user_sgpr_private_segment_buffer 1
		.amdhsa_user_sgpr_dispatch_ptr 0
		.amdhsa_user_sgpr_queue_ptr 0
		.amdhsa_user_sgpr_kernarg_segment_ptr 1
		.amdhsa_user_sgpr_dispatch_id 0
		.amdhsa_user_sgpr_flat_scratch_init 0
		.amdhsa_user_sgpr_private_segment_size 0
		.amdhsa_wavefront_size32 1
		.amdhsa_uses_dynamic_stack 0
		.amdhsa_system_sgpr_private_segment_wavefront_offset 0
		.amdhsa_system_sgpr_workgroup_id_x 1
		.amdhsa_system_sgpr_workgroup_id_y 0
		.amdhsa_system_sgpr_workgroup_id_z 0
		.amdhsa_system_sgpr_workgroup_info 0
		.amdhsa_system_vgpr_workitem_id 0
		.amdhsa_next_free_vgpr 4
		.amdhsa_next_free_sgpr 10
		.amdhsa_reserve_vcc 1
		.amdhsa_reserve_flat_scratch 0
		.amdhsa_float_round_mode_32 0
		.amdhsa_float_round_mode_16_64 0
		.amdhsa_float_denorm_mode_32 3
		.amdhsa_float_denorm_mode_16_64 3
		.amdhsa_dx10_clamp 1
		.amdhsa_ieee_mode 1
		.amdhsa_fp16_overflow 0
		.amdhsa_workgroup_processor_mode 1
		.amdhsa_memory_ordered 1
		.amdhsa_forward_progress 1
		.amdhsa_shared_vgpr_count 0
		.amdhsa_exception_fp_ieee_invalid_op 0
		.amdhsa_exception_fp_denorm_src 0
		.amdhsa_exception_fp_ieee_div_zero 0
		.amdhsa_exception_fp_ieee_overflow 0
		.amdhsa_exception_fp_ieee_underflow 0
		.amdhsa_exception_fp_ieee_inexact 0
		.amdhsa_exception_int_div_zero 0
	.end_amdhsa_kernel
	.section	.text._Z17flag_tails_kernelI6__halfiN10test_utils4lessELj256ELj1EEvPT_Px,"axG",@progbits,_Z17flag_tails_kernelI6__halfiN10test_utils4lessELj256ELj1EEvPT_Px,comdat
.Lfunc_end44:
	.size	_Z17flag_tails_kernelI6__halfiN10test_utils4lessELj256ELj1EEvPT_Px, .Lfunc_end44-_Z17flag_tails_kernelI6__halfiN10test_utils4lessELj256ELj1EEvPT_Px
                                        ; -- End function
	.set _Z17flag_tails_kernelI6__halfiN10test_utils4lessELj256ELj1EEvPT_Px.num_vgpr, 4
	.set _Z17flag_tails_kernelI6__halfiN10test_utils4lessELj256ELj1EEvPT_Px.num_agpr, 0
	.set _Z17flag_tails_kernelI6__halfiN10test_utils4lessELj256ELj1EEvPT_Px.numbered_sgpr, 10
	.set _Z17flag_tails_kernelI6__halfiN10test_utils4lessELj256ELj1EEvPT_Px.num_named_barrier, 0
	.set _Z17flag_tails_kernelI6__halfiN10test_utils4lessELj256ELj1EEvPT_Px.private_seg_size, 0
	.set _Z17flag_tails_kernelI6__halfiN10test_utils4lessELj256ELj1EEvPT_Px.uses_vcc, 1
	.set _Z17flag_tails_kernelI6__halfiN10test_utils4lessELj256ELj1EEvPT_Px.uses_flat_scratch, 0
	.set _Z17flag_tails_kernelI6__halfiN10test_utils4lessELj256ELj1EEvPT_Px.has_dyn_sized_stack, 0
	.set _Z17flag_tails_kernelI6__halfiN10test_utils4lessELj256ELj1EEvPT_Px.has_recursion, 0
	.set _Z17flag_tails_kernelI6__halfiN10test_utils4lessELj256ELj1EEvPT_Px.has_indirect_call, 0
	.section	.AMDGPU.csdata,"",@progbits
; Kernel info:
; codeLenInByte = 268
; TotalNumSgprs: 12
; NumVgprs: 4
; ScratchSize: 0
; MemoryBound: 0
; FloatMode: 240
; IeeeMode: 1
; LDSByteSize: 1024 bytes/workgroup (compile time only)
; SGPRBlocks: 0
; VGPRBlocks: 0
; NumSGPRsForWavesPerEU: 12
; NumVGPRsForWavesPerEU: 4
; Occupancy: 16
; WaveLimiterHint : 0
; COMPUTE_PGM_RSRC2:SCRATCH_EN: 0
; COMPUTE_PGM_RSRC2:USER_SGPR: 6
; COMPUTE_PGM_RSRC2:TRAP_HANDLER: 0
; COMPUTE_PGM_RSRC2:TGID_X_EN: 1
; COMPUTE_PGM_RSRC2:TGID_Y_EN: 0
; COMPUTE_PGM_RSRC2:TGID_Z_EN: 0
; COMPUTE_PGM_RSRC2:TIDIG_COMP_CNT: 0
	.section	.text._Z17flag_tails_kernelIfiN10test_utils4lessELj256ELj1EEvPT_Px,"axG",@progbits,_Z17flag_tails_kernelIfiN10test_utils4lessELj256ELj1EEvPT_Px,comdat
	.protected	_Z17flag_tails_kernelIfiN10test_utils4lessELj256ELj1EEvPT_Px ; -- Begin function _Z17flag_tails_kernelIfiN10test_utils4lessELj256ELj1EEvPT_Px
	.globl	_Z17flag_tails_kernelIfiN10test_utils4lessELj256ELj1EEvPT_Px
	.p2align	8
	.type	_Z17flag_tails_kernelIfiN10test_utils4lessELj256ELj1EEvPT_Px,@function
_Z17flag_tails_kernelIfiN10test_utils4lessELj256ELj1EEvPT_Px: ; @_Z17flag_tails_kernelIfiN10test_utils4lessELj256ELj1EEvPT_Px
; %bb.0:
	s_load_dwordx4 s[0:3], s[4:5], 0x0
	s_lshl_b32 s4, s6, 8
	s_mov_b32 s5, 0
	v_lshlrev_b32_e32 v2, 2, v0
	s_lshl_b64 s[8:9], s[4:5], 2
	s_waitcnt lgkmcnt(0)
	s_add_u32 s8, s0, s8
	s_addc_u32 s9, s1, s9
	s_bitcmp1_b32 s6, 0
	global_load_dword v1, v2, s[8:9]
	s_cselect_b32 s0, -1, 0
	s_and_b32 vcc_lo, exec_lo, s0
	v_cmp_ne_u32_e64 s0, 0xff, v0
	s_cbranch_vccz .LBB45_4
; %bb.1:
	s_mov_b32 s1, -1
	s_waitcnt vmcnt(0)
	ds_write_b32 v2, v1 offset:1024
	s_waitcnt lgkmcnt(0)
	s_barrier
	buffer_gl0_inv
	s_and_saveexec_b32 s6, s0
	s_cbranch_execz .LBB45_3
; %bb.2:
	ds_read_b32 v3, v2 offset:1028
	s_waitcnt lgkmcnt(0)
	v_cmp_lt_f32_e32 vcc_lo, v1, v3
	s_orn2_b32 s1, vcc_lo, exec_lo
.LBB45_3:
	s_or_b32 exec_lo, exec_lo, s6
	s_cbranch_execz .LBB45_5
	s_branch .LBB45_8
.LBB45_4:
                                        ; implicit-def: $sgpr1
.LBB45_5:
	s_load_dword s0, s[8:9], 0x400
	s_waitcnt vmcnt(0)
	ds_write_b32 v2, v1 offset:1024
	s_waitcnt lgkmcnt(0)
	s_barrier
	buffer_gl0_inv
	v_mov_b32_e32 v3, s0
	s_mov_b32 s0, exec_lo
	v_cmpx_ne_u32_e32 0xff, v0
; %bb.6:
	ds_read_b32 v3, v2 offset:1028
; %bb.7:
	s_or_b32 exec_lo, exec_lo, s0
	s_waitcnt lgkmcnt(0)
	v_cmp_lt_f32_e64 s1, v1, v3
.LBB45_8:
	s_mov_b32 s0, 0
	s_lshl_b64 s[4:5], s[4:5], 3
	v_lshlrev_b32_e32 v2, 3, v0
	v_cndmask_b32_e64 v0, 0, 1, s1
	s_waitcnt vmcnt(0)
	v_mov_b32_e32 v1, s0
	s_add_u32 s0, s2, s4
	s_addc_u32 s1, s3, s5
	global_store_dwordx2 v2, v[0:1], s[0:1]
	s_endpgm
	.section	.rodata,"a",@progbits
	.p2align	6, 0x0
	.amdhsa_kernel _Z17flag_tails_kernelIfiN10test_utils4lessELj256ELj1EEvPT_Px
		.amdhsa_group_segment_fixed_size 2048
		.amdhsa_private_segment_fixed_size 0
		.amdhsa_kernarg_size 16
		.amdhsa_user_sgpr_count 6
		.amdhsa_user_sgpr_private_segment_buffer 1
		.amdhsa_user_sgpr_dispatch_ptr 0
		.amdhsa_user_sgpr_queue_ptr 0
		.amdhsa_user_sgpr_kernarg_segment_ptr 1
		.amdhsa_user_sgpr_dispatch_id 0
		.amdhsa_user_sgpr_flat_scratch_init 0
		.amdhsa_user_sgpr_private_segment_size 0
		.amdhsa_wavefront_size32 1
		.amdhsa_uses_dynamic_stack 0
		.amdhsa_system_sgpr_private_segment_wavefront_offset 0
		.amdhsa_system_sgpr_workgroup_id_x 1
		.amdhsa_system_sgpr_workgroup_id_y 0
		.amdhsa_system_sgpr_workgroup_id_z 0
		.amdhsa_system_sgpr_workgroup_info 0
		.amdhsa_system_vgpr_workitem_id 0
		.amdhsa_next_free_vgpr 4
		.amdhsa_next_free_sgpr 10
		.amdhsa_reserve_vcc 1
		.amdhsa_reserve_flat_scratch 0
		.amdhsa_float_round_mode_32 0
		.amdhsa_float_round_mode_16_64 0
		.amdhsa_float_denorm_mode_32 3
		.amdhsa_float_denorm_mode_16_64 3
		.amdhsa_dx10_clamp 1
		.amdhsa_ieee_mode 1
		.amdhsa_fp16_overflow 0
		.amdhsa_workgroup_processor_mode 1
		.amdhsa_memory_ordered 1
		.amdhsa_forward_progress 1
		.amdhsa_shared_vgpr_count 0
		.amdhsa_exception_fp_ieee_invalid_op 0
		.amdhsa_exception_fp_denorm_src 0
		.amdhsa_exception_fp_ieee_div_zero 0
		.amdhsa_exception_fp_ieee_overflow 0
		.amdhsa_exception_fp_ieee_underflow 0
		.amdhsa_exception_fp_ieee_inexact 0
		.amdhsa_exception_int_div_zero 0
	.end_amdhsa_kernel
	.section	.text._Z17flag_tails_kernelIfiN10test_utils4lessELj256ELj1EEvPT_Px,"axG",@progbits,_Z17flag_tails_kernelIfiN10test_utils4lessELj256ELj1EEvPT_Px,comdat
.Lfunc_end45:
	.size	_Z17flag_tails_kernelIfiN10test_utils4lessELj256ELj1EEvPT_Px, .Lfunc_end45-_Z17flag_tails_kernelIfiN10test_utils4lessELj256ELj1EEvPT_Px
                                        ; -- End function
	.set _Z17flag_tails_kernelIfiN10test_utils4lessELj256ELj1EEvPT_Px.num_vgpr, 4
	.set _Z17flag_tails_kernelIfiN10test_utils4lessELj256ELj1EEvPT_Px.num_agpr, 0
	.set _Z17flag_tails_kernelIfiN10test_utils4lessELj256ELj1EEvPT_Px.numbered_sgpr, 10
	.set _Z17flag_tails_kernelIfiN10test_utils4lessELj256ELj1EEvPT_Px.num_named_barrier, 0
	.set _Z17flag_tails_kernelIfiN10test_utils4lessELj256ELj1EEvPT_Px.private_seg_size, 0
	.set _Z17flag_tails_kernelIfiN10test_utils4lessELj256ELj1EEvPT_Px.uses_vcc, 1
	.set _Z17flag_tails_kernelIfiN10test_utils4lessELj256ELj1EEvPT_Px.uses_flat_scratch, 0
	.set _Z17flag_tails_kernelIfiN10test_utils4lessELj256ELj1EEvPT_Px.has_dyn_sized_stack, 0
	.set _Z17flag_tails_kernelIfiN10test_utils4lessELj256ELj1EEvPT_Px.has_recursion, 0
	.set _Z17flag_tails_kernelIfiN10test_utils4lessELj256ELj1EEvPT_Px.has_indirect_call, 0
	.section	.AMDGPU.csdata,"",@progbits
; Kernel info:
; codeLenInByte = 268
; TotalNumSgprs: 12
; NumVgprs: 4
; ScratchSize: 0
; MemoryBound: 0
; FloatMode: 240
; IeeeMode: 1
; LDSByteSize: 2048 bytes/workgroup (compile time only)
; SGPRBlocks: 0
; VGPRBlocks: 0
; NumSGPRsForWavesPerEU: 12
; NumVGPRsForWavesPerEU: 4
; Occupancy: 16
; WaveLimiterHint : 0
; COMPUTE_PGM_RSRC2:SCRATCH_EN: 0
; COMPUTE_PGM_RSRC2:USER_SGPR: 6
; COMPUTE_PGM_RSRC2:TRAP_HANDLER: 0
; COMPUTE_PGM_RSRC2:TGID_X_EN: 1
; COMPUTE_PGM_RSRC2:TGID_Y_EN: 0
; COMPUTE_PGM_RSRC2:TGID_Z_EN: 0
; COMPUTE_PGM_RSRC2:TIDIG_COMP_CNT: 0
	.section	.text._Z17flag_tails_kernelIibN6hipcub10InequalityELj128ELj1EEvPT_Px,"axG",@progbits,_Z17flag_tails_kernelIibN6hipcub10InequalityELj128ELj1EEvPT_Px,comdat
	.protected	_Z17flag_tails_kernelIibN6hipcub10InequalityELj128ELj1EEvPT_Px ; -- Begin function _Z17flag_tails_kernelIibN6hipcub10InequalityELj128ELj1EEvPT_Px
	.globl	_Z17flag_tails_kernelIibN6hipcub10InequalityELj128ELj1EEvPT_Px
	.p2align	8
	.type	_Z17flag_tails_kernelIibN6hipcub10InequalityELj128ELj1EEvPT_Px,@function
_Z17flag_tails_kernelIibN6hipcub10InequalityELj128ELj1EEvPT_Px: ; @_Z17flag_tails_kernelIibN6hipcub10InequalityELj128ELj1EEvPT_Px
; %bb.0:
	s_load_dwordx4 s[0:3], s[4:5], 0x0
	s_lshl_b32 s4, s6, 7
	s_mov_b32 s5, 0
	v_lshlrev_b32_e32 v2, 2, v0
	s_lshl_b64 s[8:9], s[4:5], 2
	s_waitcnt lgkmcnt(0)
	s_add_u32 s8, s0, s8
	s_addc_u32 s9, s1, s9
	s_bitcmp1_b32 s6, 0
	global_load_dword v1, v2, s[8:9]
	s_cselect_b32 s0, -1, 0
	s_and_b32 vcc_lo, exec_lo, s0
	v_cmp_ne_u32_e64 s0, 0x7f, v0
	s_cbranch_vccz .LBB46_4
; %bb.1:
	s_mov_b32 s1, -1
	s_waitcnt vmcnt(0)
	ds_write_b32 v2, v1 offset:512
	s_waitcnt lgkmcnt(0)
	s_barrier
	buffer_gl0_inv
	s_and_saveexec_b32 s6, s0
	s_cbranch_execz .LBB46_3
; %bb.2:
	ds_read_b32 v3, v2 offset:516
	s_waitcnt lgkmcnt(0)
	v_cmp_ne_u32_e32 vcc_lo, v1, v3
	s_orn2_b32 s1, vcc_lo, exec_lo
.LBB46_3:
	s_or_b32 exec_lo, exec_lo, s6
	s_cbranch_execz .LBB46_5
	s_branch .LBB46_8
.LBB46_4:
                                        ; implicit-def: $sgpr1
.LBB46_5:
	s_load_dword s0, s[8:9], 0x200
	s_waitcnt vmcnt(0)
	ds_write_b32 v2, v1 offset:512
	s_waitcnt lgkmcnt(0)
	s_barrier
	buffer_gl0_inv
	v_mov_b32_e32 v3, s0
	s_mov_b32 s0, exec_lo
	v_cmpx_ne_u32_e32 0x7f, v0
; %bb.6:
	ds_read_b32 v3, v2 offset:516
; %bb.7:
	s_or_b32 exec_lo, exec_lo, s0
	s_waitcnt lgkmcnt(0)
	v_cmp_ne_u32_e64 s1, v1, v3
.LBB46_8:
	s_mov_b32 s0, 0
	s_lshl_b64 s[4:5], s[4:5], 3
	v_lshlrev_b32_e32 v2, 3, v0
	v_cndmask_b32_e64 v0, 0, 1, s1
	s_waitcnt vmcnt(0)
	v_mov_b32_e32 v1, s0
	s_add_u32 s0, s2, s4
	s_addc_u32 s1, s3, s5
	global_store_dwordx2 v2, v[0:1], s[0:1]
	s_endpgm
	.section	.rodata,"a",@progbits
	.p2align	6, 0x0
	.amdhsa_kernel _Z17flag_tails_kernelIibN6hipcub10InequalityELj128ELj1EEvPT_Px
		.amdhsa_group_segment_fixed_size 1024
		.amdhsa_private_segment_fixed_size 0
		.amdhsa_kernarg_size 16
		.amdhsa_user_sgpr_count 6
		.amdhsa_user_sgpr_private_segment_buffer 1
		.amdhsa_user_sgpr_dispatch_ptr 0
		.amdhsa_user_sgpr_queue_ptr 0
		.amdhsa_user_sgpr_kernarg_segment_ptr 1
		.amdhsa_user_sgpr_dispatch_id 0
		.amdhsa_user_sgpr_flat_scratch_init 0
		.amdhsa_user_sgpr_private_segment_size 0
		.amdhsa_wavefront_size32 1
		.amdhsa_uses_dynamic_stack 0
		.amdhsa_system_sgpr_private_segment_wavefront_offset 0
		.amdhsa_system_sgpr_workgroup_id_x 1
		.amdhsa_system_sgpr_workgroup_id_y 0
		.amdhsa_system_sgpr_workgroup_id_z 0
		.amdhsa_system_sgpr_workgroup_info 0
		.amdhsa_system_vgpr_workitem_id 0
		.amdhsa_next_free_vgpr 4
		.amdhsa_next_free_sgpr 10
		.amdhsa_reserve_vcc 1
		.amdhsa_reserve_flat_scratch 0
		.amdhsa_float_round_mode_32 0
		.amdhsa_float_round_mode_16_64 0
		.amdhsa_float_denorm_mode_32 3
		.amdhsa_float_denorm_mode_16_64 3
		.amdhsa_dx10_clamp 1
		.amdhsa_ieee_mode 1
		.amdhsa_fp16_overflow 0
		.amdhsa_workgroup_processor_mode 1
		.amdhsa_memory_ordered 1
		.amdhsa_forward_progress 1
		.amdhsa_shared_vgpr_count 0
		.amdhsa_exception_fp_ieee_invalid_op 0
		.amdhsa_exception_fp_denorm_src 0
		.amdhsa_exception_fp_ieee_div_zero 0
		.amdhsa_exception_fp_ieee_overflow 0
		.amdhsa_exception_fp_ieee_underflow 0
		.amdhsa_exception_fp_ieee_inexact 0
		.amdhsa_exception_int_div_zero 0
	.end_amdhsa_kernel
	.section	.text._Z17flag_tails_kernelIibN6hipcub10InequalityELj128ELj1EEvPT_Px,"axG",@progbits,_Z17flag_tails_kernelIibN6hipcub10InequalityELj128ELj1EEvPT_Px,comdat
.Lfunc_end46:
	.size	_Z17flag_tails_kernelIibN6hipcub10InequalityELj128ELj1EEvPT_Px, .Lfunc_end46-_Z17flag_tails_kernelIibN6hipcub10InequalityELj128ELj1EEvPT_Px
                                        ; -- End function
	.set _Z17flag_tails_kernelIibN6hipcub10InequalityELj128ELj1EEvPT_Px.num_vgpr, 4
	.set _Z17flag_tails_kernelIibN6hipcub10InequalityELj128ELj1EEvPT_Px.num_agpr, 0
	.set _Z17flag_tails_kernelIibN6hipcub10InequalityELj128ELj1EEvPT_Px.numbered_sgpr, 10
	.set _Z17flag_tails_kernelIibN6hipcub10InequalityELj128ELj1EEvPT_Px.num_named_barrier, 0
	.set _Z17flag_tails_kernelIibN6hipcub10InequalityELj128ELj1EEvPT_Px.private_seg_size, 0
	.set _Z17flag_tails_kernelIibN6hipcub10InequalityELj128ELj1EEvPT_Px.uses_vcc, 1
	.set _Z17flag_tails_kernelIibN6hipcub10InequalityELj128ELj1EEvPT_Px.uses_flat_scratch, 0
	.set _Z17flag_tails_kernelIibN6hipcub10InequalityELj128ELj1EEvPT_Px.has_dyn_sized_stack, 0
	.set _Z17flag_tails_kernelIibN6hipcub10InequalityELj128ELj1EEvPT_Px.has_recursion, 0
	.set _Z17flag_tails_kernelIibN6hipcub10InequalityELj128ELj1EEvPT_Px.has_indirect_call, 0
	.section	.AMDGPU.csdata,"",@progbits
; Kernel info:
; codeLenInByte = 268
; TotalNumSgprs: 12
; NumVgprs: 4
; ScratchSize: 0
; MemoryBound: 0
; FloatMode: 240
; IeeeMode: 1
; LDSByteSize: 1024 bytes/workgroup (compile time only)
; SGPRBlocks: 0
; VGPRBlocks: 0
; NumSGPRsForWavesPerEU: 12
; NumVGPRsForWavesPerEU: 4
; Occupancy: 16
; WaveLimiterHint : 0
; COMPUTE_PGM_RSRC2:SCRATCH_EN: 0
; COMPUTE_PGM_RSRC2:USER_SGPR: 6
; COMPUTE_PGM_RSRC2:TRAP_HANDLER: 0
; COMPUTE_PGM_RSRC2:TGID_X_EN: 1
; COMPUTE_PGM_RSRC2:TGID_Y_EN: 0
; COMPUTE_PGM_RSRC2:TGID_Z_EN: 0
; COMPUTE_PGM_RSRC2:TIDIG_COMP_CNT: 0
	.section	.text._Z17flag_tails_kernelIjiN6hipcub8EqualityELj64ELj1EEvPT_Px,"axG",@progbits,_Z17flag_tails_kernelIjiN6hipcub8EqualityELj64ELj1EEvPT_Px,comdat
	.protected	_Z17flag_tails_kernelIjiN6hipcub8EqualityELj64ELj1EEvPT_Px ; -- Begin function _Z17flag_tails_kernelIjiN6hipcub8EqualityELj64ELj1EEvPT_Px
	.globl	_Z17flag_tails_kernelIjiN6hipcub8EqualityELj64ELj1EEvPT_Px
	.p2align	8
	.type	_Z17flag_tails_kernelIjiN6hipcub8EqualityELj64ELj1EEvPT_Px,@function
_Z17flag_tails_kernelIjiN6hipcub8EqualityELj64ELj1EEvPT_Px: ; @_Z17flag_tails_kernelIjiN6hipcub8EqualityELj64ELj1EEvPT_Px
; %bb.0:
	s_load_dwordx4 s[0:3], s[4:5], 0x0
	s_lshl_b32 s4, s6, 6
	s_mov_b32 s5, 0
	v_lshlrev_b32_e32 v2, 2, v0
	s_lshl_b64 s[8:9], s[4:5], 2
	s_waitcnt lgkmcnt(0)
	s_add_u32 s8, s0, s8
	s_addc_u32 s9, s1, s9
	s_bitcmp1_b32 s6, 0
	global_load_dword v1, v2, s[8:9]
	s_cselect_b32 s0, -1, 0
	s_and_b32 vcc_lo, exec_lo, s0
	v_cmp_ne_u32_e64 s0, 63, v0
	s_cbranch_vccz .LBB47_4
; %bb.1:
	s_mov_b32 s1, -1
	s_waitcnt vmcnt(0)
	ds_write_b32 v2, v1 offset:256
	s_waitcnt lgkmcnt(0)
	s_barrier
	buffer_gl0_inv
	s_and_saveexec_b32 s6, s0
	s_cbranch_execz .LBB47_3
; %bb.2:
	ds_read_b32 v3, v2 offset:260
	s_waitcnt lgkmcnt(0)
	v_cmp_eq_u32_e32 vcc_lo, v1, v3
	s_orn2_b32 s1, vcc_lo, exec_lo
.LBB47_3:
	s_or_b32 exec_lo, exec_lo, s6
	s_cbranch_execz .LBB47_5
	s_branch .LBB47_8
.LBB47_4:
                                        ; implicit-def: $sgpr1
.LBB47_5:
	s_load_dword s0, s[8:9], 0x100
	s_waitcnt vmcnt(0)
	ds_write_b32 v2, v1 offset:256
	s_waitcnt lgkmcnt(0)
	s_barrier
	buffer_gl0_inv
	v_mov_b32_e32 v3, s0
	s_mov_b32 s0, exec_lo
	v_cmpx_ne_u32_e32 63, v0
; %bb.6:
	ds_read_b32 v3, v2 offset:260
; %bb.7:
	s_or_b32 exec_lo, exec_lo, s0
	s_waitcnt lgkmcnt(0)
	v_cmp_eq_u32_e64 s1, v1, v3
.LBB47_8:
	s_mov_b32 s0, 0
	s_lshl_b64 s[4:5], s[4:5], 3
	v_lshlrev_b32_e32 v2, 3, v0
	v_cndmask_b32_e64 v0, 0, 1, s1
	s_waitcnt vmcnt(0)
	v_mov_b32_e32 v1, s0
	s_add_u32 s0, s2, s4
	s_addc_u32 s1, s3, s5
	global_store_dwordx2 v2, v[0:1], s[0:1]
	s_endpgm
	.section	.rodata,"a",@progbits
	.p2align	6, 0x0
	.amdhsa_kernel _Z17flag_tails_kernelIjiN6hipcub8EqualityELj64ELj1EEvPT_Px
		.amdhsa_group_segment_fixed_size 512
		.amdhsa_private_segment_fixed_size 0
		.amdhsa_kernarg_size 16
		.amdhsa_user_sgpr_count 6
		.amdhsa_user_sgpr_private_segment_buffer 1
		.amdhsa_user_sgpr_dispatch_ptr 0
		.amdhsa_user_sgpr_queue_ptr 0
		.amdhsa_user_sgpr_kernarg_segment_ptr 1
		.amdhsa_user_sgpr_dispatch_id 0
		.amdhsa_user_sgpr_flat_scratch_init 0
		.amdhsa_user_sgpr_private_segment_size 0
		.amdhsa_wavefront_size32 1
		.amdhsa_uses_dynamic_stack 0
		.amdhsa_system_sgpr_private_segment_wavefront_offset 0
		.amdhsa_system_sgpr_workgroup_id_x 1
		.amdhsa_system_sgpr_workgroup_id_y 0
		.amdhsa_system_sgpr_workgroup_id_z 0
		.amdhsa_system_sgpr_workgroup_info 0
		.amdhsa_system_vgpr_workitem_id 0
		.amdhsa_next_free_vgpr 4
		.amdhsa_next_free_sgpr 10
		.amdhsa_reserve_vcc 1
		.amdhsa_reserve_flat_scratch 0
		.amdhsa_float_round_mode_32 0
		.amdhsa_float_round_mode_16_64 0
		.amdhsa_float_denorm_mode_32 3
		.amdhsa_float_denorm_mode_16_64 3
		.amdhsa_dx10_clamp 1
		.amdhsa_ieee_mode 1
		.amdhsa_fp16_overflow 0
		.amdhsa_workgroup_processor_mode 1
		.amdhsa_memory_ordered 1
		.amdhsa_forward_progress 1
		.amdhsa_shared_vgpr_count 0
		.amdhsa_exception_fp_ieee_invalid_op 0
		.amdhsa_exception_fp_denorm_src 0
		.amdhsa_exception_fp_ieee_div_zero 0
		.amdhsa_exception_fp_ieee_overflow 0
		.amdhsa_exception_fp_ieee_underflow 0
		.amdhsa_exception_fp_ieee_inexact 0
		.amdhsa_exception_int_div_zero 0
	.end_amdhsa_kernel
	.section	.text._Z17flag_tails_kernelIjiN6hipcub8EqualityELj64ELj1EEvPT_Px,"axG",@progbits,_Z17flag_tails_kernelIjiN6hipcub8EqualityELj64ELj1EEvPT_Px,comdat
.Lfunc_end47:
	.size	_Z17flag_tails_kernelIjiN6hipcub8EqualityELj64ELj1EEvPT_Px, .Lfunc_end47-_Z17flag_tails_kernelIjiN6hipcub8EqualityELj64ELj1EEvPT_Px
                                        ; -- End function
	.set _Z17flag_tails_kernelIjiN6hipcub8EqualityELj64ELj1EEvPT_Px.num_vgpr, 4
	.set _Z17flag_tails_kernelIjiN6hipcub8EqualityELj64ELj1EEvPT_Px.num_agpr, 0
	.set _Z17flag_tails_kernelIjiN6hipcub8EqualityELj64ELj1EEvPT_Px.numbered_sgpr, 10
	.set _Z17flag_tails_kernelIjiN6hipcub8EqualityELj64ELj1EEvPT_Px.num_named_barrier, 0
	.set _Z17flag_tails_kernelIjiN6hipcub8EqualityELj64ELj1EEvPT_Px.private_seg_size, 0
	.set _Z17flag_tails_kernelIjiN6hipcub8EqualityELj64ELj1EEvPT_Px.uses_vcc, 1
	.set _Z17flag_tails_kernelIjiN6hipcub8EqualityELj64ELj1EEvPT_Px.uses_flat_scratch, 0
	.set _Z17flag_tails_kernelIjiN6hipcub8EqualityELj64ELj1EEvPT_Px.has_dyn_sized_stack, 0
	.set _Z17flag_tails_kernelIjiN6hipcub8EqualityELj64ELj1EEvPT_Px.has_recursion, 0
	.set _Z17flag_tails_kernelIjiN6hipcub8EqualityELj64ELj1EEvPT_Px.has_indirect_call, 0
	.section	.AMDGPU.csdata,"",@progbits
; Kernel info:
; codeLenInByte = 260
; TotalNumSgprs: 12
; NumVgprs: 4
; ScratchSize: 0
; MemoryBound: 0
; FloatMode: 240
; IeeeMode: 1
; LDSByteSize: 512 bytes/workgroup (compile time only)
; SGPRBlocks: 0
; VGPRBlocks: 0
; NumSGPRsForWavesPerEU: 12
; NumVGPRsForWavesPerEU: 4
; Occupancy: 16
; WaveLimiterHint : 0
; COMPUTE_PGM_RSRC2:SCRATCH_EN: 0
; COMPUTE_PGM_RSRC2:USER_SGPR: 6
; COMPUTE_PGM_RSRC2:TRAP_HANDLER: 0
; COMPUTE_PGM_RSRC2:TGID_X_EN: 1
; COMPUTE_PGM_RSRC2:TGID_Y_EN: 0
; COMPUTE_PGM_RSRC2:TGID_Z_EN: 0
; COMPUTE_PGM_RSRC2:TIDIG_COMP_CNT: 0
	.section	.text._Z27flag_heads_and_tails_kernelIsb15custom_flag_op1IsELj234ELj9EEvPT_PxS4_,"axG",@progbits,_Z27flag_heads_and_tails_kernelIsb15custom_flag_op1IsELj234ELj9EEvPT_PxS4_,comdat
	.protected	_Z27flag_heads_and_tails_kernelIsb15custom_flag_op1IsELj234ELj9EEvPT_PxS4_ ; -- Begin function _Z27flag_heads_and_tails_kernelIsb15custom_flag_op1IsELj234ELj9EEvPT_PxS4_
	.globl	_Z27flag_heads_and_tails_kernelIsb15custom_flag_op1IsELj234ELj9EEvPT_PxS4_
	.p2align	8
	.type	_Z27flag_heads_and_tails_kernelIsb15custom_flag_op1IsELj234ELj9EEvPT_PxS4_,@function
_Z27flag_heads_and_tails_kernelIsb15custom_flag_op1IsELj234ELj9EEvPT_PxS4_: ; @_Z27flag_heads_and_tails_kernelIsb15custom_flag_op1IsELj234ELj9EEvPT_PxS4_
; %bb.0:
	s_load_dwordx4 s[0:3], s[4:5], 0x0
	v_mul_u32_u24_e32 v5, 9, v0
	s_mul_i32 s8, s6, 0x83a
	s_mov_b32 s9, 0
	s_load_dwordx2 s[4:5], s[4:5], 0x10
	s_lshl_b64 s[10:11], s[8:9], 1
	v_lshlrev_b32_e32 v6, 1, v5
	s_waitcnt lgkmcnt(0)
	s_add_u32 s10, s0, s10
	s_addc_u32 s11, s1, s11
	s_and_b32 s6, s6, 3
	s_clause 0x1
	global_load_dwordx4 v[1:4], v6, s[10:11]
	global_load_ushort v6, v6, s[10:11] offset:16
	s_cmp_lt_i32 s6, 2
	s_cbranch_scc1 .LBB48_8
; %bb.1:
	s_cmp_gt_i32 s6, 2
	s_cbranch_scc0 .LBB48_9
; %bb.2:
	s_waitcnt vmcnt(1)
	v_cmp_eq_u16_sdwa s7, v4, v4 src0_sel:DWORD src1_sel:WORD_1
	v_cndmask_b32_e64 v10, 0, 1, s7
	v_cmp_eq_u16_sdwa s7, v3, v4 src0_sel:WORD_1 src1_sel:DWORD
	v_lshlrev_b16 v14, 8, v10
	v_cndmask_b32_e64 v12, 0, 1, s7
	v_cmp_eq_u16_sdwa s7, v3, v3 src0_sel:DWORD src1_sel:WORD_1
	v_or_b32_sdwa v20, v12, v14 dst_sel:WORD_1 dst_unused:UNUSED_PAD src0_sel:DWORD src1_sel:DWORD
	v_cndmask_b32_e64 v11, 0, 1, s7
	v_cmp_eq_u16_sdwa s7, v2, v2 src0_sel:DWORD src1_sel:WORD_1
	v_lshlrev_b32_e32 v14, 1, v0
	v_lshlrev_b16 v9, 8, v11
	v_cndmask_b32_e64 v13, 0, 1, s7
	v_cmp_eq_u16_sdwa s7, v1, v1 src0_sel:DWORD src1_sel:WORD_1
	s_waitcnt vmcnt(0)
	ds_write_b16 v14, v6
	s_waitcnt lgkmcnt(0)
	s_barrier
	v_lshlrev_b16 v7, 8, v13
	v_cndmask_b32_e64 v15, 0, 1, s7
	v_cmp_eq_u16_sdwa s7, v2, v3 src0_sel:WORD_1 src1_sel:DWORD
	buffer_gl0_inv
	v_lshlrev_b16 v8, 8, v15
	v_cndmask_b32_e64 v16, 0, 1, s7
	v_cmp_eq_u16_sdwa s7, v1, v2 src0_sel:WORD_1 src1_sel:DWORD
	v_or_b32_e32 v8, 1, v8
	v_or_b32_e32 v19, v16, v9
	v_cndmask_b32_e64 v17, 0, 1, s7
	v_cmp_eq_u16_sdwa s7, v4, v6 src0_sel:WORD_1 src1_sel:DWORD
	v_or_b32_sdwa v18, v17, v7 dst_sel:WORD_1 dst_unused:UNUSED_PAD src0_sel:DWORD src1_sel:DWORD
	v_cndmask_b32_e64 v7, 0, 1, s7
	s_mov_b32 s7, exec_lo
	v_or_b32_sdwa v9, v8, v18 dst_sel:DWORD dst_unused:UNUSED_PAD src0_sel:WORD_0 src1_sel:DWORD
	v_or_b32_sdwa v8, v19, v20 dst_sel:DWORD dst_unused:UNUSED_PAD src0_sel:WORD_0 src1_sel:DWORD
	v_cmpx_ne_u32_e32 0, v0
	s_cbranch_execz .LBB48_4
; %bb.3:
	v_add_nc_u32_e32 v18, -2, v14
	v_mov_b32_e32 v19, 8
	v_mov_b32_e32 v20, 24
	;; [unrolled: 1-line block ×3, first 2 shown]
	ds_read_u16 v18, v18
	v_lshrrev_b32_sdwa v19, v19, v9 dst_sel:BYTE_1 dst_unused:UNUSED_PAD src0_sel:DWORD src1_sel:DWORD
	v_lshrrev_b32_sdwa v20, v20, v9 dst_sel:BYTE_1 dst_unused:UNUSED_PAD src0_sel:DWORD src1_sel:DWORD
	v_and_b32_sdwa v9, v9, v21 dst_sel:DWORD dst_unused:UNUSED_PAD src0_sel:WORD_1 src1_sel:DWORD
	v_or_b32_sdwa v9, v9, v20 dst_sel:WORD_1 dst_unused:UNUSED_PAD src0_sel:DWORD src1_sel:DWORD
	s_waitcnt lgkmcnt(0)
	v_cmp_eq_u16_e32 vcc_lo, v18, v1
	v_cndmask_b32_e64 v18, 0, 1, vcc_lo
	v_or_b32_e32 v18, v18, v19
	v_or_b32_sdwa v9, v18, v9 dst_sel:DWORD dst_unused:UNUSED_PAD src0_sel:WORD_0 src1_sel:DWORD
.LBB48_4:
	s_or_b32 exec_lo, exec_lo, s7
	v_lshlrev_b16 v17, 8, v17
	v_lshlrev_b16 v16, 8, v16
	;; [unrolled: 1-line block ×4, first 2 shown]
	s_mov_b32 s7, exec_lo
	v_or_b32_e32 v15, v15, v17
	v_or_b32_sdwa v13, v13, v16 dst_sel:WORD_1 dst_unused:UNUSED_PAD src0_sel:DWORD src1_sel:DWORD
	v_or_b32_e32 v11, v11, v12
	v_or_b32_sdwa v16, v10, v18 dst_sel:WORD_1 dst_unused:UNUSED_PAD src0_sel:DWORD src1_sel:DWORD
	v_mov_b32_e32 v10, 1
	ds_write_b16 v14, v1 offset:468
	v_or_b32_sdwa v12, v15, v13 dst_sel:DWORD dst_unused:UNUSED_PAD src0_sel:WORD_0 src1_sel:DWORD
	s_waitcnt lgkmcnt(0)
	v_or_b32_sdwa v11, v11, v16 dst_sel:DWORD dst_unused:UNUSED_PAD src0_sel:WORD_0 src1_sel:DWORD
	s_barrier
	buffer_gl0_inv
	v_cmpx_ne_u32_e32 0xe9, v0
	s_cbranch_execz .LBB48_6
; %bb.5:
	ds_read_u16 v10, v14 offset:470
	s_waitcnt lgkmcnt(0)
	v_cmp_eq_u16_e32 vcc_lo, v6, v10
	v_cndmask_b32_e64 v10, 0, 1, vcc_lo
.LBB48_6:
	s_or_b32 exec_lo, exec_lo, s7
.LBB48_7:
	s_cbranch_execz .LBB48_15
	s_branch .LBB48_27
.LBB48_8:
                                        ; implicit-def: $vgpr7
                                        ; implicit-def: $vgpr8
                                        ; implicit-def: $vgpr9
                                        ; implicit-def: $vgpr10
                                        ; implicit-def: $vgpr11
                                        ; implicit-def: $vgpr12
	s_branch .LBB48_15
.LBB48_9:
                                        ; implicit-def: $vgpr7
                                        ; implicit-def: $vgpr8
                                        ; implicit-def: $vgpr9
                                        ; implicit-def: $vgpr10
                                        ; implicit-def: $vgpr11
                                        ; implicit-def: $vgpr12
	s_cbranch_execz .LBB48_7
; %bb.10:
	s_add_i32 s10, s8, -1
	s_mov_b32 s11, 0
	v_mov_b32_e32 v7, 0
	s_lshl_b64 s[10:11], s[10:11], 1
	v_lshlrev_b32_e32 v8, 1, v0
	s_add_u32 s10, s0, s10
	s_addc_u32 s11, s1, s11
	s_mov_b32 s7, exec_lo
	global_load_ushort v9, v7, s[10:11]
	s_waitcnt vmcnt(1)
	ds_write_b16 v8, v6
	s_waitcnt vmcnt(0) lgkmcnt(0)
	s_barrier
	buffer_gl0_inv
	v_cmpx_ne_u32_e32 0, v0
; %bb.11:
	v_add_nc_u32_e32 v7, -2, v8
	ds_read_u16 v9, v7
; %bb.12:
	s_or_b32 exec_lo, exec_lo, s7
	v_cmp_eq_u16_sdwa s7, v4, v6 src0_sel:WORD_1 src1_sel:DWORD
	s_waitcnt lgkmcnt(0)
	v_cmp_eq_u16_e32 vcc_lo, v9, v1
	ds_write_b16 v8, v1 offset:468
	s_waitcnt lgkmcnt(0)
	s_barrier
	v_cndmask_b32_e64 v7, 0, 1, s7
	v_cmp_eq_u16_sdwa s7, v4, v4 src0_sel:DWORD src1_sel:WORD_1
	v_cndmask_b32_e64 v22, 0, 1, vcc_lo
	buffer_gl0_inv
	v_lshlrev_b16 v20, 8, v7
	v_cndmask_b32_e64 v13, 0, 1, s7
	v_cmp_eq_u16_sdwa s7, v3, v4 src0_sel:WORD_1 src1_sel:DWORD
	v_or_b32_sdwa v20, v13, v20 dst_sel:WORD_1 dst_unused:UNUSED_PAD src0_sel:DWORD src1_sel:DWORD
	v_cndmask_b32_e64 v14, 0, 1, s7
	v_cmp_eq_u16_sdwa s7, v3, v3 src0_sel:DWORD src1_sel:WORD_1
	v_lshlrev_b16 v12, 8, v14
	v_cndmask_b32_e64 v15, 0, 1, s7
	v_cmp_eq_u16_sdwa s7, v2, v3 src0_sel:WORD_1 src1_sel:DWORD
	v_or_b32_e32 v21, v15, v12
	v_cndmask_b32_e64 v16, 0, 1, s7
	v_cmp_eq_u16_sdwa s7, v1, v2 src0_sel:WORD_1 src1_sel:DWORD
	v_lshlrev_b16 v15, 8, v15
	v_lshlrev_b16 v11, 8, v16
	v_cndmask_b32_e64 v17, 0, 1, s7
	v_cmp_eq_u16_sdwa s7, v2, v2 src0_sel:DWORD src1_sel:WORD_1
	v_or_b32_e32 v15, v16, v15
	v_lshlrev_b16 v10, 8, v17
	v_cndmask_b32_e64 v18, 0, 1, s7
	v_cmp_eq_u16_sdwa s7, v1, v1 src0_sel:DWORD src1_sel:WORD_1
	v_or_b32_sdwa v11, v18, v11 dst_sel:WORD_1 dst_unused:UNUSED_PAD src0_sel:DWORD src1_sel:DWORD
	v_cndmask_b32_e64 v19, 0, 1, s7
	v_lshlrev_b16 v9, 8, v18
	s_mov_b32 s7, exec_lo
	v_or_b32_e32 v10, v19, v10
	v_lshlrev_b16 v18, 8, v19
	v_lshlrev_b16 v19, 8, v13
	v_or_b32_sdwa v9, v17, v9 dst_sel:WORD_1 dst_unused:UNUSED_PAD src0_sel:DWORD src1_sel:DWORD
	v_or_b32_sdwa v12, v10, v11 dst_sel:DWORD dst_unused:UNUSED_PAD src0_sel:WORD_0 src1_sel:DWORD
	v_or_b32_sdwa v11, v21, v20 dst_sel:DWORD dst_unused:UNUSED_PAD src0_sel:WORD_0 src1_sel:DWORD
	v_mov_b32_e32 v10, 1
	v_or_b32_e32 v13, v22, v18
	v_or_b32_sdwa v14, v14, v19 dst_sel:WORD_1 dst_unused:UNUSED_PAD src0_sel:DWORD src1_sel:DWORD
	v_cmpx_ne_u32_e32 0xe9, v0
	s_cbranch_execz .LBB48_14
; %bb.13:
	ds_read_u16 v8, v8 offset:470
	s_waitcnt lgkmcnt(0)
	v_cmp_eq_u16_e32 vcc_lo, v6, v8
	v_cndmask_b32_e64 v10, 0, 1, vcc_lo
.LBB48_14:
	s_or_b32 exec_lo, exec_lo, s7
	v_or_b32_sdwa v9, v13, v9 dst_sel:DWORD dst_unused:UNUSED_PAD src0_sel:WORD_0 src1_sel:DWORD
	v_or_b32_sdwa v8, v15, v14 dst_sel:DWORD dst_unused:UNUSED_PAD src0_sel:WORD_0 src1_sel:DWORD
	s_cbranch_execnz .LBB48_27
.LBB48_15:
	s_waitcnt vmcnt(0)
	v_cmp_eq_u16_sdwa s7, v4, v6 src0_sel:WORD_1 src1_sel:DWORD
	v_cmp_eq_u16_sdwa s13, v4, v4 src0_sel:DWORD src1_sel:WORD_1
	v_cmp_eq_u16_sdwa s14, v3, v4 src0_sel:WORD_1 src1_sel:DWORD
	v_cmp_eq_u16_sdwa s10, v3, v3 src0_sel:DWORD src1_sel:WORD_1
	;; [unrolled: 2-line block ×4, first 2 shown]
	v_lshlrev_b32_e32 v13, 1, v0
	s_cmp_eq_u32 s6, 1
	v_cmp_ne_u32_e32 vcc_lo, 0, v0
	s_cbranch_scc1 .LBB48_21
; %bb.16:
	s_add_i32 s18, s8, 0x83a
	s_mov_b32 s19, 0
	v_mov_b32_e32 v7, 0
	s_lshl_b64 s[18:19], s[18:19], 1
	v_cndmask_b32_e64 v11, 0, 1, s13
	s_add_u32 s18, s0, s18
	s_addc_u32 s19, s1, s19
	v_cndmask_b32_e64 v12, 0, 1, s15
	global_load_ushort v10, v7, s[18:19]
	v_cndmask_b32_e64 v16, 0, 1, s16
	v_cndmask_b32_e64 v15, 0, 1, s10
	;; [unrolled: 1-line block ×5, first 2 shown]
	v_lshlrev_b16 v7, 8, v12
	v_lshlrev_b16 v8, 8, v16
	;; [unrolled: 1-line block ×4, first 2 shown]
	ds_write_b16 v13, v6
	v_or_b32_sdwa v7, v18, v7 dst_sel:WORD_1 dst_unused:UNUSED_PAD src0_sel:DWORD src1_sel:DWORD
	v_or_b32_e32 v8, 1, v8
	v_or_b32_e32 v20, v17, v9
	v_or_b32_sdwa v19, v14, v19 dst_sel:WORD_1 dst_unused:UNUSED_PAD src0_sel:DWORD src1_sel:DWORD
	s_waitcnt vmcnt(0) lgkmcnt(0)
	s_barrier
	v_or_b32_sdwa v9, v8, v7 dst_sel:DWORD dst_unused:UNUSED_PAD src0_sel:WORD_0 src1_sel:DWORD
	buffer_gl0_inv
	v_or_b32_sdwa v8, v20, v19 dst_sel:DWORD dst_unused:UNUSED_PAD src0_sel:WORD_0 src1_sel:DWORD
	s_and_saveexec_b32 s6, vcc_lo
	s_cbranch_execz .LBB48_18
; %bb.17:
	v_add_nc_u32_e32 v7, -2, v13
	v_mov_b32_e32 v19, 8
	v_mov_b32_e32 v20, 24
	;; [unrolled: 1-line block ×3, first 2 shown]
	ds_read_u16 v7, v7
	v_lshrrev_b32_sdwa v19, v19, v9 dst_sel:BYTE_1 dst_unused:UNUSED_PAD src0_sel:DWORD src1_sel:DWORD
	v_lshrrev_b32_sdwa v20, v20, v9 dst_sel:BYTE_1 dst_unused:UNUSED_PAD src0_sel:DWORD src1_sel:DWORD
	v_and_b32_sdwa v9, v9, v21 dst_sel:DWORD dst_unused:UNUSED_PAD src0_sel:WORD_1 src1_sel:DWORD
	v_or_b32_sdwa v9, v9, v20 dst_sel:WORD_1 dst_unused:UNUSED_PAD src0_sel:DWORD src1_sel:DWORD
	s_waitcnt lgkmcnt(0)
	v_cmp_eq_u16_e32 vcc_lo, v7, v1
	v_cndmask_b32_e64 v7, 0, 1, vcc_lo
	v_or_b32_e32 v7, v7, v19
	v_or_b32_sdwa v9, v7, v9 dst_sel:DWORD dst_unused:UNUSED_PAD src0_sel:WORD_0 src1_sel:DWORD
.LBB48_18:
	s_or_b32 exec_lo, exec_lo, s6
	v_cndmask_b32_e64 v7, 0, 1, s7
	s_mov_b32 s6, exec_lo
	ds_write_b16 v13, v1 offset:468
	s_waitcnt lgkmcnt(0)
	s_barrier
	buffer_gl0_inv
	v_cmpx_ne_u32_e32 0xe9, v0
; %bb.19:
	ds_read_u16 v10, v13 offset:470
; %bb.20:
	s_or_b32 exec_lo, exec_lo, s6
	v_lshlrev_b16 v18, 8, v18
	v_lshlrev_b16 v17, 8, v17
	;; [unrolled: 1-line block ×4, first 2 shown]
	s_waitcnt lgkmcnt(0)
	v_cmp_eq_u16_e32 vcc_lo, v6, v10
	v_or_b32_e32 v16, v16, v18
	v_or_b32_sdwa v12, v12, v17 dst_sel:WORD_1 dst_unused:UNUSED_PAD src0_sel:DWORD src1_sel:DWORD
	v_or_b32_e32 v14, v15, v14
	v_or_b32_sdwa v11, v11, v19 dst_sel:WORD_1 dst_unused:UNUSED_PAD src0_sel:DWORD src1_sel:DWORD
	v_cndmask_b32_e64 v10, 0, 1, vcc_lo
	v_or_b32_sdwa v12, v16, v12 dst_sel:DWORD dst_unused:UNUSED_PAD src0_sel:WORD_0 src1_sel:DWORD
	v_or_b32_sdwa v11, v14, v11 dst_sel:DWORD dst_unused:UNUSED_PAD src0_sel:WORD_0 src1_sel:DWORD
	s_branch .LBB48_27
.LBB48_21:
                                        ; implicit-def: $vgpr7
                                        ; implicit-def: $vgpr8
                                        ; implicit-def: $vgpr9
                                        ; implicit-def: $vgpr10
                                        ; implicit-def: $vgpr11
                                        ; implicit-def: $vgpr12
	s_cbranch_execz .LBB48_27
; %bb.22:
	s_add_i32 s6, s8, -1
	s_mov_b32 s7, 0
	v_mov_b32_e32 v7, 0
	s_lshl_b64 s[10:11], s[6:7], 1
	s_add_u32 s10, s0, s10
	s_addc_u32 s11, s1, s11
	s_add_i32 s6, s8, 0x83a
	s_lshl_b64 s[6:7], s[6:7], 1
	s_add_u32 s0, s0, s6
	s_addc_u32 s1, s1, s7
	s_clause 0x1
	global_load_ushort v9, v7, s[10:11]
	global_load_ushort v8, v7, s[0:1]
	s_mov_b32 s0, exec_lo
	ds_write_b16 v13, v6
	s_waitcnt vmcnt(0) lgkmcnt(0)
	s_barrier
	buffer_gl0_inv
	v_cmpx_ne_u32_e32 0, v0
; %bb.23:
	v_add_nc_u32_e32 v7, -2, v13
	ds_read_u16 v9, v7
; %bb.24:
	s_or_b32 exec_lo, exec_lo, s0
	s_mov_b32 s0, exec_lo
	ds_write_b16 v13, v1 offset:468
	s_waitcnt lgkmcnt(0)
	s_barrier
	buffer_gl0_inv
	v_cmpx_ne_u32_e32 0xe9, v0
; %bb.25:
	ds_read_u16 v8, v13 offset:470
; %bb.26:
	s_or_b32 exec_lo, exec_lo, s0
	v_cmp_eq_u16_sdwa s0, v4, v6 src0_sel:WORD_1 src1_sel:DWORD
	v_cmp_eq_u16_e32 vcc_lo, v9, v1
	v_cndmask_b32_e64 v7, 0, 1, s0
	v_cmp_eq_u16_sdwa s0, v4, v4 src0_sel:DWORD src1_sel:WORD_1
	v_cndmask_b32_e64 v0, 0, 1, s0
	v_cmp_eq_u16_sdwa s0, v3, v4 src0_sel:WORD_1 src1_sel:DWORD
	v_cndmask_b32_e64 v4, 0, 1, s0
	v_cmp_eq_u16_sdwa s0, v3, v3 src0_sel:DWORD src1_sel:WORD_1
	v_cndmask_b32_e64 v10, 0, 1, s0
	v_cmp_eq_u16_sdwa s0, v2, v3 src0_sel:WORD_1 src1_sel:DWORD
	v_lshlrev_b16 v16, 8, v10
	v_cndmask_b32_e64 v3, 0, 1, s0
	v_cmp_eq_u16_sdwa s0, v1, v2 src0_sel:WORD_1 src1_sel:DWORD
	v_lshlrev_b16 v14, 8, v3
	v_cndmask_b32_e64 v11, 0, 1, s0
	v_cmp_eq_u16_sdwa s0, v2, v2 src0_sel:DWORD src1_sel:WORD_1
	v_or_b32_e32 v3, v3, v16
	v_lshlrev_b16 v13, 8, v11
	v_cndmask_b32_e64 v2, 0, 1, s0
	v_cmp_eq_u16_sdwa s0, v1, v1 src0_sel:DWORD src1_sel:WORD_1
	v_cndmask_b32_e64 v1, 0, 1, vcc_lo
	s_waitcnt lgkmcnt(0)
	v_cmp_eq_u16_e32 vcc_lo, v6, v8
	v_lshlrev_b16 v15, 8, v2
	v_cndmask_b32_e64 v12, 0, 1, s0
	v_or_b32_sdwa v2, v2, v14 dst_sel:WORD_1 dst_unused:UNUSED_PAD src0_sel:DWORD src1_sel:DWORD
	v_lshlrev_b16 v14, 8, v7
	v_or_b32_e32 v9, v12, v13
	v_or_b32_sdwa v13, v11, v15 dst_sel:WORD_1 dst_unused:UNUSED_PAD src0_sel:DWORD src1_sel:DWORD
	v_lshlrev_b16 v11, 8, v12
	v_lshlrev_b16 v12, 8, v4
	;; [unrolled: 1-line block ×3, first 2 shown]
	v_or_b32_sdwa v0, v0, v14 dst_sel:WORD_1 dst_unused:UNUSED_PAD src0_sel:DWORD src1_sel:DWORD
	v_or_b32_e32 v1, v1, v11
	v_or_b32_e32 v11, v10, v12
	v_or_b32_sdwa v4, v4, v15 dst_sel:WORD_1 dst_unused:UNUSED_PAD src0_sel:DWORD src1_sel:DWORD
	v_cndmask_b32_e64 v10, 0, 1, vcc_lo
	v_or_b32_sdwa v12, v9, v2 dst_sel:DWORD dst_unused:UNUSED_PAD src0_sel:WORD_0 src1_sel:DWORD
	v_or_b32_sdwa v9, v1, v13 dst_sel:DWORD dst_unused:UNUSED_PAD src0_sel:WORD_0 src1_sel:DWORD
	;; [unrolled: 1-line block ×4, first 2 shown]
.LBB48_27:
	s_waitcnt vmcnt(1)
	v_mov_b32_e32 v1, 0
	s_lshl_b64 s[0:1], s[8:9], 3
	v_lshlrev_b32_e32 v4, 3, v5
	v_and_b32_e32 v0, 0xff, v9
	v_bfe_u32 v2, v9, 8, 8
	v_mov_b32_e32 v3, v1
	s_add_u32 s2, s2, s0
	s_addc_u32 s3, s3, s1
	s_add_u32 s0, s4, s0
	s_addc_u32 s1, s5, s1
	global_store_dwordx4 v4, v[0:3], s[2:3]
	v_lshrrev_b32_e32 v2, 24, v9
	v_bfe_u32 v0, v9, 16, 8
	global_store_dwordx4 v4, v[0:3], s[2:3] offset:16
	v_and_b32_e32 v0, 0xff, v8
	v_bfe_u32 v2, v8, 8, 8
	global_store_dwordx4 v4, v[0:3], s[2:3] offset:32
	v_lshrrev_b32_e32 v2, 24, v8
	v_bfe_u32 v0, v8, 16, 8
	global_store_dwordx4 v4, v[0:3], s[2:3] offset:48
	v_and_b32_e32 v0, 0xff, v7
	v_bfe_u32 v2, v12, 8, 8
	global_store_dwordx2 v4, v[0:1], s[2:3] offset:64
	v_and_b32_e32 v0, 0xff, v12
	global_store_dwordx4 v4, v[0:3], s[0:1]
	v_lshrrev_b32_e32 v2, 24, v12
	v_bfe_u32 v0, v12, 16, 8
	global_store_dwordx4 v4, v[0:3], s[0:1] offset:16
	v_and_b32_e32 v0, 0xff, v11
	v_bfe_u32 v2, v11, 8, 8
	global_store_dwordx4 v4, v[0:3], s[0:1] offset:32
	v_lshrrev_b32_e32 v2, 24, v11
	v_bfe_u32 v0, v11, 16, 8
	global_store_dwordx4 v4, v[0:3], s[0:1] offset:48
	v_and_b32_e32 v0, 0xff, v10
	global_store_dwordx2 v4, v[0:1], s[0:1] offset:64
	s_endpgm
	.section	.rodata,"a",@progbits
	.p2align	6, 0x0
	.amdhsa_kernel _Z27flag_heads_and_tails_kernelIsb15custom_flag_op1IsELj234ELj9EEvPT_PxS4_
		.amdhsa_group_segment_fixed_size 936
		.amdhsa_private_segment_fixed_size 0
		.amdhsa_kernarg_size 24
		.amdhsa_user_sgpr_count 6
		.amdhsa_user_sgpr_private_segment_buffer 1
		.amdhsa_user_sgpr_dispatch_ptr 0
		.amdhsa_user_sgpr_queue_ptr 0
		.amdhsa_user_sgpr_kernarg_segment_ptr 1
		.amdhsa_user_sgpr_dispatch_id 0
		.amdhsa_user_sgpr_flat_scratch_init 0
		.amdhsa_user_sgpr_private_segment_size 0
		.amdhsa_wavefront_size32 1
		.amdhsa_uses_dynamic_stack 0
		.amdhsa_system_sgpr_private_segment_wavefront_offset 0
		.amdhsa_system_sgpr_workgroup_id_x 1
		.amdhsa_system_sgpr_workgroup_id_y 0
		.amdhsa_system_sgpr_workgroup_id_z 0
		.amdhsa_system_sgpr_workgroup_info 0
		.amdhsa_system_vgpr_workitem_id 0
		.amdhsa_next_free_vgpr 23
		.amdhsa_next_free_sgpr 20
		.amdhsa_reserve_vcc 1
		.amdhsa_reserve_flat_scratch 0
		.amdhsa_float_round_mode_32 0
		.amdhsa_float_round_mode_16_64 0
		.amdhsa_float_denorm_mode_32 3
		.amdhsa_float_denorm_mode_16_64 3
		.amdhsa_dx10_clamp 1
		.amdhsa_ieee_mode 1
		.amdhsa_fp16_overflow 0
		.amdhsa_workgroup_processor_mode 1
		.amdhsa_memory_ordered 1
		.amdhsa_forward_progress 1
		.amdhsa_shared_vgpr_count 0
		.amdhsa_exception_fp_ieee_invalid_op 0
		.amdhsa_exception_fp_denorm_src 0
		.amdhsa_exception_fp_ieee_div_zero 0
		.amdhsa_exception_fp_ieee_overflow 0
		.amdhsa_exception_fp_ieee_underflow 0
		.amdhsa_exception_fp_ieee_inexact 0
		.amdhsa_exception_int_div_zero 0
	.end_amdhsa_kernel
	.section	.text._Z27flag_heads_and_tails_kernelIsb15custom_flag_op1IsELj234ELj9EEvPT_PxS4_,"axG",@progbits,_Z27flag_heads_and_tails_kernelIsb15custom_flag_op1IsELj234ELj9EEvPT_PxS4_,comdat
.Lfunc_end48:
	.size	_Z27flag_heads_and_tails_kernelIsb15custom_flag_op1IsELj234ELj9EEvPT_PxS4_, .Lfunc_end48-_Z27flag_heads_and_tails_kernelIsb15custom_flag_op1IsELj234ELj9EEvPT_PxS4_
                                        ; -- End function
	.set _Z27flag_heads_and_tails_kernelIsb15custom_flag_op1IsELj234ELj9EEvPT_PxS4_.num_vgpr, 23
	.set _Z27flag_heads_and_tails_kernelIsb15custom_flag_op1IsELj234ELj9EEvPT_PxS4_.num_agpr, 0
	.set _Z27flag_heads_and_tails_kernelIsb15custom_flag_op1IsELj234ELj9EEvPT_PxS4_.numbered_sgpr, 20
	.set _Z27flag_heads_and_tails_kernelIsb15custom_flag_op1IsELj234ELj9EEvPT_PxS4_.num_named_barrier, 0
	.set _Z27flag_heads_and_tails_kernelIsb15custom_flag_op1IsELj234ELj9EEvPT_PxS4_.private_seg_size, 0
	.set _Z27flag_heads_and_tails_kernelIsb15custom_flag_op1IsELj234ELj9EEvPT_PxS4_.uses_vcc, 1
	.set _Z27flag_heads_and_tails_kernelIsb15custom_flag_op1IsELj234ELj9EEvPT_PxS4_.uses_flat_scratch, 0
	.set _Z27flag_heads_and_tails_kernelIsb15custom_flag_op1IsELj234ELj9EEvPT_PxS4_.has_dyn_sized_stack, 0
	.set _Z27flag_heads_and_tails_kernelIsb15custom_flag_op1IsELj234ELj9EEvPT_PxS4_.has_recursion, 0
	.set _Z27flag_heads_and_tails_kernelIsb15custom_flag_op1IsELj234ELj9EEvPT_PxS4_.has_indirect_call, 0
	.section	.AMDGPU.csdata,"",@progbits
; Kernel info:
; codeLenInByte = 2276
; TotalNumSgprs: 22
; NumVgprs: 23
; ScratchSize: 0
; MemoryBound: 0
; FloatMode: 240
; IeeeMode: 1
; LDSByteSize: 936 bytes/workgroup (compile time only)
; SGPRBlocks: 0
; VGPRBlocks: 2
; NumSGPRsForWavesPerEU: 22
; NumVGPRsForWavesPerEU: 23
; Occupancy: 16
; WaveLimiterHint : 0
; COMPUTE_PGM_RSRC2:SCRATCH_EN: 0
; COMPUTE_PGM_RSRC2:USER_SGPR: 6
; COMPUTE_PGM_RSRC2:TRAP_HANDLER: 0
; COMPUTE_PGM_RSRC2:TGID_X_EN: 1
; COMPUTE_PGM_RSRC2:TGID_Y_EN: 0
; COMPUTE_PGM_RSRC2:TGID_Z_EN: 0
; COMPUTE_PGM_RSRC2:TIDIG_COMP_CNT: 0
	.section	.text._Z27flag_heads_and_tails_kernelItiN10test_utils7greaterELj100ELj3EEvPT_PxS4_,"axG",@progbits,_Z27flag_heads_and_tails_kernelItiN10test_utils7greaterELj100ELj3EEvPT_PxS4_,comdat
	.protected	_Z27flag_heads_and_tails_kernelItiN10test_utils7greaterELj100ELj3EEvPT_PxS4_ ; -- Begin function _Z27flag_heads_and_tails_kernelItiN10test_utils7greaterELj100ELj3EEvPT_PxS4_
	.globl	_Z27flag_heads_and_tails_kernelItiN10test_utils7greaterELj100ELj3EEvPT_PxS4_
	.p2align	8
	.type	_Z27flag_heads_and_tails_kernelItiN10test_utils7greaterELj100ELj3EEvPT_PxS4_,@function
_Z27flag_heads_and_tails_kernelItiN10test_utils7greaterELj100ELj3EEvPT_PxS4_: ; @_Z27flag_heads_and_tails_kernelItiN10test_utils7greaterELj100ELj3EEvPT_PxS4_
; %bb.0:
	s_clause 0x1
	s_load_dwordx4 s[8:11], s[4:5], 0x0
	s_load_dwordx2 s[2:3], s[4:5], 0x10
	v_mul_u32_u24_e32 v2, 3, v0
	s_mul_i32 s12, s6, 0x12c
	s_mov_b32 s13, 0
	s_lshl_b64 s[0:1], s[12:13], 1
	v_lshlrev_b32_e32 v1, 1, v2
	s_waitcnt lgkmcnt(0)
	s_add_u32 s0, s8, s0
	s_addc_u32 s1, s9, s1
	s_clause 0x1
	global_load_ushort v4, v1, s[0:1] offset:4
	global_load_dword v6, v1, s[0:1]
	s_and_b32 s1, s6, 3
	s_cmp_lt_i32 s1, 2
	s_cbranch_scc1 .LBB49_8
; %bb.1:
	s_cmp_gt_i32 s1, 2
	s_cbranch_scc0 .LBB49_9
; %bb.2:
	v_mov_b32_e32 v7, 1
	v_lshlrev_b32_e32 v3, 1, v0
	s_waitcnt vmcnt(0)
	v_cmp_gt_u16_sdwa s0, v6, v4 src0_sel:WORD_1 src1_sel:DWORD
	v_cmp_gt_u16_sdwa s4, v6, v6 src0_sel:DWORD src1_sel:WORD_1
	v_mov_b32_e32 v1, 1
	s_mov_b32 s5, exec_lo
	ds_write_b16 v3, v4
	s_waitcnt lgkmcnt(0)
	s_barrier
	buffer_gl0_inv
	v_cmpx_ne_u32_e32 0, v0
	s_cbranch_execz .LBB49_4
; %bb.3:
	v_add_nc_u32_e32 v1, -2, v3
	ds_read_u16 v1, v1
	s_waitcnt lgkmcnt(0)
	v_cmp_gt_u16_e32 vcc_lo, v1, v6
	v_cndmask_b32_e64 v1, 0, 1, vcc_lo
.LBB49_4:
	s_or_b32 exec_lo, exec_lo, s5
	s_mov_b32 s5, exec_lo
	ds_write_b16 v3, v6 offset:200
	s_waitcnt lgkmcnt(0)
	s_barrier
	buffer_gl0_inv
	v_cmpx_ne_u32_e32 0x63, v0
	s_cbranch_execz .LBB49_6
; %bb.5:
	ds_read_u16 v3, v3 offset:202
	s_waitcnt lgkmcnt(0)
	v_cmp_gt_u16_e32 vcc_lo, v4, v3
	v_cndmask_b32_e64 v7, 0, 1, vcc_lo
.LBB49_6:
	s_or_b32 exec_lo, exec_lo, s5
	v_cndmask_b32_e64 v5, 0, 1, s0
	v_cndmask_b32_e64 v3, 0, 1, s4
.LBB49_7:
	s_cbranch_execz .LBB49_15
	s_branch .LBB49_27
.LBB49_8:
                                        ; implicit-def: $vgpr1
                                        ; implicit-def: $vgpr7
                                        ; implicit-def: $vgpr5
	s_branch .LBB49_15
.LBB49_9:
                                        ; implicit-def: $vgpr1
                                        ; implicit-def: $vgpr7
                                        ; implicit-def: $vgpr5
	s_cbranch_execz .LBB49_7
; %bb.10:
	s_add_i32 s4, s12, -1
	s_mov_b32 s5, 0
	v_mov_b32_e32 v1, 0
	s_lshl_b64 s[4:5], s[4:5], 1
	s_mov_b32 s0, exec_lo
	s_add_u32 s4, s8, s4
	s_addc_u32 s5, s9, s5
	global_load_ushort v3, v1, s[4:5]
	v_lshlrev_b32_e32 v1, 1, v0
	s_waitcnt vmcnt(2)
	ds_write_b16 v1, v4
	s_waitcnt vmcnt(0) lgkmcnt(0)
	s_barrier
	buffer_gl0_inv
	v_cmpx_ne_u32_e32 0, v0
; %bb.11:
	v_add_nc_u32_e32 v3, -2, v1
	ds_read_u16 v3, v3
; %bb.12:
	s_or_b32 exec_lo, exec_lo, s0
	v_cmp_gt_u16_sdwa s4, v6, v4 src0_sel:WORD_1 src1_sel:DWORD
	v_cmp_gt_u16_sdwa s5, v6, v6 src0_sel:DWORD src1_sel:WORD_1
	v_mov_b32_e32 v7, 1
	s_mov_b32 s6, exec_lo
	s_waitcnt lgkmcnt(0)
	v_cmp_gt_u16_e32 vcc_lo, v3, v6
	ds_write_b16 v1, v6 offset:200
	s_waitcnt lgkmcnt(0)
	s_barrier
	buffer_gl0_inv
	v_cmpx_ne_u32_e32 0x63, v0
	s_cbranch_execz .LBB49_14
; %bb.13:
	ds_read_u16 v1, v1 offset:202
	s_waitcnt lgkmcnt(0)
	v_cmp_gt_u16_e64 s0, v4, v1
	v_cndmask_b32_e64 v7, 0, 1, s0
.LBB49_14:
	s_or_b32 exec_lo, exec_lo, s6
	v_cndmask_b32_e64 v5, 0, 1, s4
	v_cndmask_b32_e64 v3, 0, 1, s5
	v_cndmask_b32_e64 v1, 0, 1, vcc_lo
	s_cbranch_execnz .LBB49_27
.LBB49_15:
	s_waitcnt vmcnt(0)
	v_cmp_gt_u16_sdwa s0, v6, v4 src0_sel:WORD_1 src1_sel:DWORD
	v_cmp_gt_u16_sdwa s4, v6, v6 src0_sel:DWORD src1_sel:WORD_1
	v_lshlrev_b32_e32 v8, 1, v0
	s_cmp_eq_u32 s1, 1
	v_cmp_ne_u32_e32 vcc_lo, 0, v0
	s_cbranch_scc1 .LBB49_21
; %bb.16:
	s_add_i32 s6, s12, 0x12c
	s_mov_b32 s7, 0
	v_mov_b32_e32 v1, 0
	s_lshl_b64 s[6:7], s[6:7], 1
	ds_write_b16 v8, v4
	s_add_u32 s6, s8, s6
	s_addc_u32 s7, s9, s7
	global_load_ushort v7, v1, s[6:7]
	v_mov_b32_e32 v1, 1
	s_waitcnt vmcnt(0) lgkmcnt(0)
	s_barrier
	buffer_gl0_inv
	s_and_saveexec_b32 s1, vcc_lo
	s_cbranch_execz .LBB49_18
; %bb.17:
	v_add_nc_u32_e32 v1, -2, v8
	ds_read_u16 v1, v1
	s_waitcnt lgkmcnt(0)
	v_cmp_gt_u16_e32 vcc_lo, v1, v6
	v_cndmask_b32_e64 v1, 0, 1, vcc_lo
.LBB49_18:
	s_or_b32 exec_lo, exec_lo, s1
	s_mov_b32 s1, exec_lo
	ds_write_b16 v8, v6 offset:200
	s_waitcnt lgkmcnt(0)
	s_barrier
	buffer_gl0_inv
	v_cmpx_ne_u32_e32 0x63, v0
; %bb.19:
	ds_read_u16 v7, v8 offset:202
; %bb.20:
	s_or_b32 exec_lo, exec_lo, s1
	s_waitcnt lgkmcnt(0)
	v_cmp_gt_u16_e32 vcc_lo, v4, v7
	v_cndmask_b32_e64 v5, 0, 1, s0
	v_cndmask_b32_e64 v3, 0, 1, s4
	v_cndmask_b32_e64 v7, 0, 1, vcc_lo
	s_branch .LBB49_27
.LBB49_21:
                                        ; implicit-def: $vgpr1
                                        ; implicit-def: $vgpr7
                                        ; implicit-def: $vgpr5
	s_cbranch_execz .LBB49_27
; %bb.22:
	s_add_i32 s0, s12, -1
	s_mov_b32 s1, 0
	v_mov_b32_e32 v3, 0
	s_lshl_b64 s[4:5], s[0:1], 1
	s_add_u32 s4, s8, s4
	s_addc_u32 s5, s9, s5
	s_add_i32 s0, s12, 0x12c
	s_lshl_b64 s[0:1], s[0:1], 1
	s_add_u32 s0, s8, s0
	s_addc_u32 s1, s9, s1
	s_clause 0x1
	global_load_ushort v1, v3, s[4:5]
	global_load_ushort v7, v3, s[0:1]
	s_mov_b32 s0, exec_lo
	ds_write_b16 v8, v4
	s_waitcnt vmcnt(0) lgkmcnt(0)
	s_barrier
	buffer_gl0_inv
	v_cmpx_ne_u32_e32 0, v0
; %bb.23:
	v_add_nc_u32_e32 v1, -2, v8
	ds_read_u16 v1, v1
; %bb.24:
	s_or_b32 exec_lo, exec_lo, s0
	s_mov_b32 s0, exec_lo
	ds_write_b16 v8, v6 offset:200
	s_waitcnt lgkmcnt(0)
	s_barrier
	buffer_gl0_inv
	v_cmpx_ne_u32_e32 0x63, v0
; %bb.25:
	ds_read_u16 v7, v8 offset:202
; %bb.26:
	s_or_b32 exec_lo, exec_lo, s0
	v_cmp_gt_u16_sdwa s0, v6, v4 src0_sel:WORD_1 src1_sel:DWORD
	v_cmp_gt_u16_e32 vcc_lo, v1, v6
	v_cndmask_b32_e64 v5, 0, 1, s0
	v_cmp_gt_u16_sdwa s0, v6, v6 src0_sel:DWORD src1_sel:WORD_1
	v_cndmask_b32_e64 v1, 0, 1, vcc_lo
	s_waitcnt lgkmcnt(0)
	v_cmp_gt_u16_e32 vcc_lo, v4, v7
	v_cndmask_b32_e64 v3, 0, 1, s0
	v_cndmask_b32_e64 v7, 0, 1, vcc_lo
.LBB49_27:
	s_lshl_b64 s[0:1], s[12:13], 3
	v_lshlrev_b32_e32 v0, 3, v2
	v_ashrrev_i32_e32 v2, 31, v1
	s_waitcnt vmcnt(1)
	v_ashrrev_i32_e32 v4, 31, v3
	s_waitcnt vmcnt(0)
	v_ashrrev_i32_e32 v6, 31, v5
	s_add_u32 s4, s10, s0
	s_addc_u32 s5, s11, s1
	v_ashrrev_i32_e32 v8, 31, v7
	s_add_u32 s0, s2, s0
	s_addc_u32 s1, s3, s1
	global_store_dwordx4 v0, v[1:4], s[4:5]
	global_store_dwordx2 v0, v[5:6], s[4:5] offset:16
	global_store_dwordx4 v0, v[3:6], s[0:1]
	global_store_dwordx2 v0, v[7:8], s[0:1] offset:16
	s_endpgm
	.section	.rodata,"a",@progbits
	.p2align	6, 0x0
	.amdhsa_kernel _Z27flag_heads_and_tails_kernelItiN10test_utils7greaterELj100ELj3EEvPT_PxS4_
		.amdhsa_group_segment_fixed_size 400
		.amdhsa_private_segment_fixed_size 0
		.amdhsa_kernarg_size 24
		.amdhsa_user_sgpr_count 6
		.amdhsa_user_sgpr_private_segment_buffer 1
		.amdhsa_user_sgpr_dispatch_ptr 0
		.amdhsa_user_sgpr_queue_ptr 0
		.amdhsa_user_sgpr_kernarg_segment_ptr 1
		.amdhsa_user_sgpr_dispatch_id 0
		.amdhsa_user_sgpr_flat_scratch_init 0
		.amdhsa_user_sgpr_private_segment_size 0
		.amdhsa_wavefront_size32 1
		.amdhsa_uses_dynamic_stack 0
		.amdhsa_system_sgpr_private_segment_wavefront_offset 0
		.amdhsa_system_sgpr_workgroup_id_x 1
		.amdhsa_system_sgpr_workgroup_id_y 0
		.amdhsa_system_sgpr_workgroup_id_z 0
		.amdhsa_system_sgpr_workgroup_info 0
		.amdhsa_system_vgpr_workitem_id 0
		.amdhsa_next_free_vgpr 9
		.amdhsa_next_free_sgpr 14
		.amdhsa_reserve_vcc 1
		.amdhsa_reserve_flat_scratch 0
		.amdhsa_float_round_mode_32 0
		.amdhsa_float_round_mode_16_64 0
		.amdhsa_float_denorm_mode_32 3
		.amdhsa_float_denorm_mode_16_64 3
		.amdhsa_dx10_clamp 1
		.amdhsa_ieee_mode 1
		.amdhsa_fp16_overflow 0
		.amdhsa_workgroup_processor_mode 1
		.amdhsa_memory_ordered 1
		.amdhsa_forward_progress 1
		.amdhsa_shared_vgpr_count 0
		.amdhsa_exception_fp_ieee_invalid_op 0
		.amdhsa_exception_fp_denorm_src 0
		.amdhsa_exception_fp_ieee_div_zero 0
		.amdhsa_exception_fp_ieee_overflow 0
		.amdhsa_exception_fp_ieee_underflow 0
		.amdhsa_exception_fp_ieee_inexact 0
		.amdhsa_exception_int_div_zero 0
	.end_amdhsa_kernel
	.section	.text._Z27flag_heads_and_tails_kernelItiN10test_utils7greaterELj100ELj3EEvPT_PxS4_,"axG",@progbits,_Z27flag_heads_and_tails_kernelItiN10test_utils7greaterELj100ELj3EEvPT_PxS4_,comdat
.Lfunc_end49:
	.size	_Z27flag_heads_and_tails_kernelItiN10test_utils7greaterELj100ELj3EEvPT_PxS4_, .Lfunc_end49-_Z27flag_heads_and_tails_kernelItiN10test_utils7greaterELj100ELj3EEvPT_PxS4_
                                        ; -- End function
	.set _Z27flag_heads_and_tails_kernelItiN10test_utils7greaterELj100ELj3EEvPT_PxS4_.num_vgpr, 9
	.set _Z27flag_heads_and_tails_kernelItiN10test_utils7greaterELj100ELj3EEvPT_PxS4_.num_agpr, 0
	.set _Z27flag_heads_and_tails_kernelItiN10test_utils7greaterELj100ELj3EEvPT_PxS4_.numbered_sgpr, 14
	.set _Z27flag_heads_and_tails_kernelItiN10test_utils7greaterELj100ELj3EEvPT_PxS4_.num_named_barrier, 0
	.set _Z27flag_heads_and_tails_kernelItiN10test_utils7greaterELj100ELj3EEvPT_PxS4_.private_seg_size, 0
	.set _Z27flag_heads_and_tails_kernelItiN10test_utils7greaterELj100ELj3EEvPT_PxS4_.uses_vcc, 1
	.set _Z27flag_heads_and_tails_kernelItiN10test_utils7greaterELj100ELj3EEvPT_PxS4_.uses_flat_scratch, 0
	.set _Z27flag_heads_and_tails_kernelItiN10test_utils7greaterELj100ELj3EEvPT_PxS4_.has_dyn_sized_stack, 0
	.set _Z27flag_heads_and_tails_kernelItiN10test_utils7greaterELj100ELj3EEvPT_PxS4_.has_recursion, 0
	.set _Z27flag_heads_and_tails_kernelItiN10test_utils7greaterELj100ELj3EEvPT_PxS4_.has_indirect_call, 0
	.section	.AMDGPU.csdata,"",@progbits
; Kernel info:
; codeLenInByte = 1044
; TotalNumSgprs: 16
; NumVgprs: 9
; ScratchSize: 0
; MemoryBound: 0
; FloatMode: 240
; IeeeMode: 1
; LDSByteSize: 400 bytes/workgroup (compile time only)
; SGPRBlocks: 0
; VGPRBlocks: 1
; NumSGPRsForWavesPerEU: 16
; NumVGPRsForWavesPerEU: 9
; Occupancy: 16
; WaveLimiterHint : 0
; COMPUTE_PGM_RSRC2:SCRATCH_EN: 0
; COMPUTE_PGM_RSRC2:USER_SGPR: 6
; COMPUTE_PGM_RSRC2:TRAP_HANDLER: 0
; COMPUTE_PGM_RSRC2:TGID_X_EN: 1
; COMPUTE_PGM_RSRC2:TGID_Y_EN: 0
; COMPUTE_PGM_RSRC2:TGID_Z_EN: 0
; COMPUTE_PGM_RSRC2:TIDIG_COMP_CNT: 0
	.section	.text._Z27flag_heads_and_tails_kernelI12hip_bfloat16jN10test_utils7greaterELj464ELj2EEvPT_PxS5_,"axG",@progbits,_Z27flag_heads_and_tails_kernelI12hip_bfloat16jN10test_utils7greaterELj464ELj2EEvPT_PxS5_,comdat
	.protected	_Z27flag_heads_and_tails_kernelI12hip_bfloat16jN10test_utils7greaterELj464ELj2EEvPT_PxS5_ ; -- Begin function _Z27flag_heads_and_tails_kernelI12hip_bfloat16jN10test_utils7greaterELj464ELj2EEvPT_PxS5_
	.globl	_Z27flag_heads_and_tails_kernelI12hip_bfloat16jN10test_utils7greaterELj464ELj2EEvPT_PxS5_
	.p2align	8
	.type	_Z27flag_heads_and_tails_kernelI12hip_bfloat16jN10test_utils7greaterELj464ELj2EEvPT_PxS5_,@function
_Z27flag_heads_and_tails_kernelI12hip_bfloat16jN10test_utils7greaterELj464ELj2EEvPT_PxS5_: ; @_Z27flag_heads_and_tails_kernelI12hip_bfloat16jN10test_utils7greaterELj464ELj2EEvPT_PxS5_
; %bb.0:
	s_clause 0x1
	s_load_dwordx4 s[8:11], s[4:5], 0x0
	s_load_dwordx2 s[2:3], s[4:5], 0x10
	s_mul_i32 s12, s6, 0x3a0
	s_mov_b32 s13, 0
	v_lshlrev_b32_e32 v1, 2, v0
	s_lshl_b64 s[0:1], s[12:13], 1
	v_lshlrev_b32_e32 v4, 1, v0
	s_waitcnt lgkmcnt(0)
	s_add_u32 s0, s8, s0
	s_addc_u32 s1, s9, s1
	s_and_b32 s4, s6, 3
	global_load_dword v2, v1, s[0:1]
	s_cmp_lt_i32 s4, 2
	s_waitcnt vmcnt(0)
	v_lshrrev_b32_e32 v5, 16, v2
	s_cbranch_scc1 .LBB50_8
; %bb.1:
	s_cmp_gt_i32 s4, 2
	s_cbranch_scc0 .LBB50_9
; %bb.2:
	v_lshlrev_b32_e32 v3, 16, v5
	v_lshlrev_b32_e32 v7, 16, v2
	v_mov_b32_e32 v6, 1
	v_mov_b32_e32 v1, 1
	s_mov_b32 s1, exec_lo
	ds_write_b16 v4, v5
	v_cmp_lt_f32_e32 vcc_lo, v3, v7
	s_waitcnt lgkmcnt(0)
	s_barrier
	buffer_gl0_inv
	v_cmpx_ne_u32_e32 0, v0
	s_cbranch_execz .LBB50_4
; %bb.3:
	v_add_nc_u32_e32 v1, -2, v4
	ds_read_u16 v1, v1
	s_waitcnt lgkmcnt(0)
	v_lshlrev_b32_e32 v1, 16, v1
	v_cmp_lt_f32_e64 s0, v7, v1
	v_cndmask_b32_e64 v1, 0, 1, s0
.LBB50_4:
	s_or_b32 exec_lo, exec_lo, s1
	s_mov_b32 s1, exec_lo
	ds_write_b16 v4, v2 offset:928
	s_waitcnt lgkmcnt(0)
	s_barrier
	buffer_gl0_inv
	v_cmpx_ne_u32_e32 0x1cf, v0
	s_cbranch_execz .LBB50_6
; %bb.5:
	ds_read_u16 v6, v4 offset:930
	s_waitcnt lgkmcnt(0)
	v_lshlrev_b32_e32 v6, 16, v6
	v_cmp_lt_f32_e64 s0, v6, v3
	v_cndmask_b32_e64 v6, 0, 1, s0
.LBB50_6:
	s_or_b32 exec_lo, exec_lo, s1
	v_cndmask_b32_e64 v3, 0, 1, vcc_lo
.LBB50_7:
	s_cbranch_execz .LBB50_15
	s_branch .LBB50_27
.LBB50_8:
                                        ; implicit-def: $vgpr1
                                        ; implicit-def: $vgpr6
	s_branch .LBB50_15
.LBB50_9:
                                        ; implicit-def: $vgpr1
                                        ; implicit-def: $vgpr6
	s_cbranch_execz .LBB50_7
; %bb.10:
	s_add_i32 s0, s12, -1
	s_mov_b32 s1, 0
	v_mov_b32_e32 v1, 0
	s_lshl_b64 s[0:1], s[0:1], 1
	ds_write_b16 v4, v5
	s_add_u32 s0, s8, s0
	s_addc_u32 s1, s9, s1
	global_load_ushort v3, v1, s[0:1]
	s_mov_b32 s0, exec_lo
	s_waitcnt vmcnt(0) lgkmcnt(0)
	s_barrier
	buffer_gl0_inv
	v_cmpx_ne_u32_e32 0, v0
; %bb.11:
	v_add_nc_u32_e32 v1, -2, v4
	ds_read_u16 v3, v1
; %bb.12:
	s_or_b32 exec_lo, exec_lo, s0
	v_lshlrev_b32_e32 v1, 16, v5
	v_lshlrev_b32_e32 v6, 16, v2
	s_waitcnt lgkmcnt(0)
	v_lshlrev_b32_e32 v3, 16, v3
	s_mov_b32 s5, exec_lo
	ds_write_b16 v4, v2 offset:928
	s_waitcnt lgkmcnt(0)
	v_cmp_lt_f32_e32 vcc_lo, v1, v6
	v_cmp_lt_f32_e64 s0, v6, v3
	v_mov_b32_e32 v6, 1
	s_barrier
	buffer_gl0_inv
	v_cmpx_ne_u32_e32 0x1cf, v0
	s_cbranch_execz .LBB50_14
; %bb.13:
	ds_read_u16 v3, v4 offset:930
	s_waitcnt lgkmcnt(0)
	v_lshlrev_b32_e32 v3, 16, v3
	v_cmp_lt_f32_e64 s1, v3, v1
	v_cndmask_b32_e64 v6, 0, 1, s1
.LBB50_14:
	s_or_b32 exec_lo, exec_lo, s5
	v_cndmask_b32_e64 v3, 0, 1, vcc_lo
	v_cndmask_b32_e64 v1, 0, 1, s0
	s_cbranch_execnz .LBB50_27
.LBB50_15:
	v_lshlrev_b32_e32 v7, 16, v5
	v_lshlrev_b32_e32 v8, 16, v2
	v_cmp_ne_u32_e64 s0, 0, v0
	s_cmp_eq_u32 s4, 1
	v_cmp_lt_f32_e32 vcc_lo, v7, v8
	s_cbranch_scc1 .LBB50_21
; %bb.16:
	s_add_i32 s4, s12, 0x3a0
	s_mov_b32 s5, 0
	v_mov_b32_e32 v1, 0
	s_lshl_b64 s[4:5], s[4:5], 1
	ds_write_b16 v4, v5
	s_add_u32 s4, s8, s4
	s_addc_u32 s5, s9, s5
	global_load_ushort v3, v1, s[4:5]
	v_mov_b32_e32 v1, 1
	s_waitcnt vmcnt(0) lgkmcnt(0)
	s_barrier
	buffer_gl0_inv
	s_and_saveexec_b32 s1, s0
	s_cbranch_execz .LBB50_18
; %bb.17:
	v_add_nc_u32_e32 v1, -2, v4
	ds_read_u16 v1, v1
	s_waitcnt lgkmcnt(0)
	v_lshlrev_b32_e32 v1, 16, v1
	v_cmp_lt_f32_e64 s0, v8, v1
	v_cndmask_b32_e64 v1, 0, 1, s0
.LBB50_18:
	s_or_b32 exec_lo, exec_lo, s1
	s_mov_b32 s1, exec_lo
	ds_write_b16 v4, v2 offset:928
	s_waitcnt lgkmcnt(0)
	s_barrier
	buffer_gl0_inv
	v_cmpx_ne_u32_e32 0x1cf, v0
; %bb.19:
	ds_read_u16 v3, v4 offset:930
; %bb.20:
	s_or_b32 exec_lo, exec_lo, s1
	s_waitcnt lgkmcnt(0)
	v_lshlrev_b32_e32 v6, 16, v3
	v_cndmask_b32_e64 v3, 0, 1, vcc_lo
	v_cmp_lt_f32_e32 vcc_lo, v6, v7
	v_cndmask_b32_e64 v6, 0, 1, vcc_lo
	s_branch .LBB50_27
.LBB50_21:
                                        ; implicit-def: $vgpr1
                                        ; implicit-def: $vgpr6
	s_cbranch_execz .LBB50_27
; %bb.22:
	s_add_i32 s0, s12, -1
	s_mov_b32 s1, 0
	v_mov_b32_e32 v1, 0
	s_lshl_b64 s[4:5], s[0:1], 1
	s_add_u32 s4, s8, s4
	s_addc_u32 s5, s9, s5
	s_add_i32 s0, s12, 0x3a0
	s_lshl_b64 s[0:1], s[0:1], 1
	s_add_u32 s0, s8, s0
	s_addc_u32 s1, s9, s1
	s_clause 0x1
	global_load_ushort v3, v1, s[4:5]
	global_load_ushort v1, v1, s[0:1]
	s_mov_b32 s0, exec_lo
	ds_write_b16 v4, v5
	s_waitcnt vmcnt(0) lgkmcnt(0)
	s_barrier
	buffer_gl0_inv
	v_cmpx_ne_u32_e32 0, v0
; %bb.23:
	v_add_nc_u32_e32 v3, -2, v4
	ds_read_u16 v3, v3
; %bb.24:
	s_or_b32 exec_lo, exec_lo, s0
	s_mov_b32 s0, exec_lo
	ds_write_b16 v4, v2 offset:928
	s_waitcnt lgkmcnt(0)
	s_barrier
	buffer_gl0_inv
	v_cmpx_ne_u32_e32 0x1cf, v0
; %bb.25:
	ds_read_u16 v1, v4 offset:930
; %bb.26:
	s_or_b32 exec_lo, exec_lo, s0
	v_lshlrev_b32_e32 v0, 16, v3
	v_cmp_lt_f32_e32 vcc_lo, v7, v8
	s_waitcnt lgkmcnt(0)
	v_lshlrev_b32_e32 v2, 16, v1
	v_cndmask_b32_e64 v3, 0, 1, vcc_lo
	v_cmp_lt_f32_e32 vcc_lo, v8, v0
	v_cndmask_b32_e64 v1, 0, 1, vcc_lo
	v_cmp_lt_f32_e32 vcc_lo, v2, v7
	v_cndmask_b32_e64 v6, 0, 1, vcc_lo
.LBB50_27:
	v_mov_b32_e32 v2, 0
	s_lshl_b64 s[0:1], s[12:13], 3
	v_lshlrev_b32_e32 v0, 3, v4
	s_add_u32 s4, s10, s0
	s_addc_u32 s5, s11, s1
	v_mov_b32_e32 v4, v2
	s_add_u32 s0, s2, s0
	s_addc_u32 s1, s3, s1
	global_store_dwordx4 v0, v[1:4], s[4:5]
	v_mov_b32_e32 v1, v3
	v_mov_b32_e32 v3, v6
	global_store_dwordx4 v0, v[1:4], s[0:1]
	s_endpgm
	.section	.rodata,"a",@progbits
	.p2align	6, 0x0
	.amdhsa_kernel _Z27flag_heads_and_tails_kernelI12hip_bfloat16jN10test_utils7greaterELj464ELj2EEvPT_PxS5_
		.amdhsa_group_segment_fixed_size 1856
		.amdhsa_private_segment_fixed_size 0
		.amdhsa_kernarg_size 24
		.amdhsa_user_sgpr_count 6
		.amdhsa_user_sgpr_private_segment_buffer 1
		.amdhsa_user_sgpr_dispatch_ptr 0
		.amdhsa_user_sgpr_queue_ptr 0
		.amdhsa_user_sgpr_kernarg_segment_ptr 1
		.amdhsa_user_sgpr_dispatch_id 0
		.amdhsa_user_sgpr_flat_scratch_init 0
		.amdhsa_user_sgpr_private_segment_size 0
		.amdhsa_wavefront_size32 1
		.amdhsa_uses_dynamic_stack 0
		.amdhsa_system_sgpr_private_segment_wavefront_offset 0
		.amdhsa_system_sgpr_workgroup_id_x 1
		.amdhsa_system_sgpr_workgroup_id_y 0
		.amdhsa_system_sgpr_workgroup_id_z 0
		.amdhsa_system_sgpr_workgroup_info 0
		.amdhsa_system_vgpr_workitem_id 0
		.amdhsa_next_free_vgpr 9
		.amdhsa_next_free_sgpr 14
		.amdhsa_reserve_vcc 1
		.amdhsa_reserve_flat_scratch 0
		.amdhsa_float_round_mode_32 0
		.amdhsa_float_round_mode_16_64 0
		.amdhsa_float_denorm_mode_32 3
		.amdhsa_float_denorm_mode_16_64 3
		.amdhsa_dx10_clamp 1
		.amdhsa_ieee_mode 1
		.amdhsa_fp16_overflow 0
		.amdhsa_workgroup_processor_mode 1
		.amdhsa_memory_ordered 1
		.amdhsa_forward_progress 1
		.amdhsa_shared_vgpr_count 0
		.amdhsa_exception_fp_ieee_invalid_op 0
		.amdhsa_exception_fp_denorm_src 0
		.amdhsa_exception_fp_ieee_div_zero 0
		.amdhsa_exception_fp_ieee_overflow 0
		.amdhsa_exception_fp_ieee_underflow 0
		.amdhsa_exception_fp_ieee_inexact 0
		.amdhsa_exception_int_div_zero 0
	.end_amdhsa_kernel
	.section	.text._Z27flag_heads_and_tails_kernelI12hip_bfloat16jN10test_utils7greaterELj464ELj2EEvPT_PxS5_,"axG",@progbits,_Z27flag_heads_and_tails_kernelI12hip_bfloat16jN10test_utils7greaterELj464ELj2EEvPT_PxS5_,comdat
.Lfunc_end50:
	.size	_Z27flag_heads_and_tails_kernelI12hip_bfloat16jN10test_utils7greaterELj464ELj2EEvPT_PxS5_, .Lfunc_end50-_Z27flag_heads_and_tails_kernelI12hip_bfloat16jN10test_utils7greaterELj464ELj2EEvPT_PxS5_
                                        ; -- End function
	.set _Z27flag_heads_and_tails_kernelI12hip_bfloat16jN10test_utils7greaterELj464ELj2EEvPT_PxS5_.num_vgpr, 9
	.set _Z27flag_heads_and_tails_kernelI12hip_bfloat16jN10test_utils7greaterELj464ELj2EEvPT_PxS5_.num_agpr, 0
	.set _Z27flag_heads_and_tails_kernelI12hip_bfloat16jN10test_utils7greaterELj464ELj2EEvPT_PxS5_.numbered_sgpr, 14
	.set _Z27flag_heads_and_tails_kernelI12hip_bfloat16jN10test_utils7greaterELj464ELj2EEvPT_PxS5_.num_named_barrier, 0
	.set _Z27flag_heads_and_tails_kernelI12hip_bfloat16jN10test_utils7greaterELj464ELj2EEvPT_PxS5_.private_seg_size, 0
	.set _Z27flag_heads_and_tails_kernelI12hip_bfloat16jN10test_utils7greaterELj464ELj2EEvPT_PxS5_.uses_vcc, 1
	.set _Z27flag_heads_and_tails_kernelI12hip_bfloat16jN10test_utils7greaterELj464ELj2EEvPT_PxS5_.uses_flat_scratch, 0
	.set _Z27flag_heads_and_tails_kernelI12hip_bfloat16jN10test_utils7greaterELj464ELj2EEvPT_PxS5_.has_dyn_sized_stack, 0
	.set _Z27flag_heads_and_tails_kernelI12hip_bfloat16jN10test_utils7greaterELj464ELj2EEvPT_PxS5_.has_recursion, 0
	.set _Z27flag_heads_and_tails_kernelI12hip_bfloat16jN10test_utils7greaterELj464ELj2EEvPT_PxS5_.has_indirect_call, 0
	.section	.AMDGPU.csdata,"",@progbits
; Kernel info:
; codeLenInByte = 988
; TotalNumSgprs: 16
; NumVgprs: 9
; ScratchSize: 0
; MemoryBound: 0
; FloatMode: 240
; IeeeMode: 1
; LDSByteSize: 1856 bytes/workgroup (compile time only)
; SGPRBlocks: 0
; VGPRBlocks: 1
; NumSGPRsForWavesPerEU: 16
; NumVGPRsForWavesPerEU: 9
; Occupancy: 16
; WaveLimiterHint : 0
; COMPUTE_PGM_RSRC2:SCRATCH_EN: 0
; COMPUTE_PGM_RSRC2:USER_SGPR: 6
; COMPUTE_PGM_RSRC2:TRAP_HANDLER: 0
; COMPUTE_PGM_RSRC2:TGID_X_EN: 1
; COMPUTE_PGM_RSRC2:TGID_Y_EN: 0
; COMPUTE_PGM_RSRC2:TGID_Z_EN: 0
; COMPUTE_PGM_RSRC2:TIDIG_COMP_CNT: 0
	.section	.text._Z27flag_heads_and_tails_kernelI6__halfjN10test_utils7greaterELj464ELj2EEvPT_PxS5_,"axG",@progbits,_Z27flag_heads_and_tails_kernelI6__halfjN10test_utils7greaterELj464ELj2EEvPT_PxS5_,comdat
	.protected	_Z27flag_heads_and_tails_kernelI6__halfjN10test_utils7greaterELj464ELj2EEvPT_PxS5_ ; -- Begin function _Z27flag_heads_and_tails_kernelI6__halfjN10test_utils7greaterELj464ELj2EEvPT_PxS5_
	.globl	_Z27flag_heads_and_tails_kernelI6__halfjN10test_utils7greaterELj464ELj2EEvPT_PxS5_
	.p2align	8
	.type	_Z27flag_heads_and_tails_kernelI6__halfjN10test_utils7greaterELj464ELj2EEvPT_PxS5_,@function
_Z27flag_heads_and_tails_kernelI6__halfjN10test_utils7greaterELj464ELj2EEvPT_PxS5_: ; @_Z27flag_heads_and_tails_kernelI6__halfjN10test_utils7greaterELj464ELj2EEvPT_PxS5_
; %bb.0:
	s_clause 0x1
	s_load_dwordx4 s[8:11], s[4:5], 0x0
	s_load_dwordx2 s[2:3], s[4:5], 0x10
	s_mul_i32 s12, s6, 0x3a0
	s_mov_b32 s13, 0
	v_lshlrev_b32_e32 v1, 2, v0
	s_lshl_b64 s[0:1], s[12:13], 1
	v_lshlrev_b32_e32 v4, 1, v0
	s_waitcnt lgkmcnt(0)
	s_add_u32 s0, s8, s0
	s_addc_u32 s1, s9, s1
	global_load_dword v2, v1, s[0:1]
	s_and_b32 s1, s6, 3
	s_cmp_lt_i32 s1, 2
	s_waitcnt vmcnt(0)
	v_lshrrev_b32_e32 v5, 16, v2
	s_cbranch_scc1 .LBB51_8
; %bb.1:
	s_cmp_gt_i32 s1, 2
	s_cbranch_scc0 .LBB51_9
; %bb.2:
	v_mov_b32_e32 v6, 1
	v_cmp_gt_f16_sdwa s0, v2, v2 src0_sel:DWORD src1_sel:WORD_1
	v_mov_b32_e32 v1, 1
	s_mov_b32 s4, exec_lo
	ds_write_b16 v4, v5
	s_waitcnt lgkmcnt(0)
	s_barrier
	buffer_gl0_inv
	v_cmpx_ne_u32_e32 0, v0
	s_cbranch_execz .LBB51_4
; %bb.3:
	v_add_nc_u32_e32 v1, -2, v4
	ds_read_u16 v1, v1
	s_waitcnt lgkmcnt(0)
	v_cmp_gt_f16_e32 vcc_lo, v1, v2
	v_cndmask_b32_e64 v1, 0, 1, vcc_lo
.LBB51_4:
	s_or_b32 exec_lo, exec_lo, s4
	s_mov_b32 s4, exec_lo
	ds_write_b16 v4, v2 offset:928
	s_waitcnt lgkmcnt(0)
	s_barrier
	buffer_gl0_inv
	v_cmpx_ne_u32_e32 0x1cf, v0
	s_cbranch_execz .LBB51_6
; %bb.5:
	ds_read_u16 v3, v4 offset:930
	s_waitcnt lgkmcnt(0)
	v_cmp_lt_f16_sdwa s5, v3, v2 src0_sel:DWORD src1_sel:WORD_1
	v_cndmask_b32_e64 v6, 0, 1, s5
.LBB51_6:
	s_or_b32 exec_lo, exec_lo, s4
	v_cndmask_b32_e64 v3, 0, 1, s0
.LBB51_7:
	s_cbranch_execz .LBB51_15
	s_branch .LBB51_27
.LBB51_8:
                                        ; implicit-def: $vgpr1
                                        ; implicit-def: $vgpr6
	s_branch .LBB51_15
.LBB51_9:
                                        ; implicit-def: $vgpr1
                                        ; implicit-def: $vgpr6
	s_cbranch_execz .LBB51_7
; %bb.10:
	s_add_i32 s4, s12, -1
	s_mov_b32 s5, 0
	v_mov_b32_e32 v1, 0
	s_lshl_b64 s[4:5], s[4:5], 1
	s_mov_b32 s0, exec_lo
	s_add_u32 s4, s8, s4
	s_addc_u32 s5, s9, s5
	ds_write_b16 v4, v5
	global_load_ushort v1, v1, s[4:5]
	s_waitcnt vmcnt(0) lgkmcnt(0)
	s_barrier
	buffer_gl0_inv
	v_cmpx_ne_u32_e32 0, v0
; %bb.11:
	v_add_nc_u32_e32 v1, -2, v4
	ds_read_u16 v1, v1
; %bb.12:
	s_or_b32 exec_lo, exec_lo, s0
	v_cmp_gt_f16_sdwa s4, v2, v2 src0_sel:DWORD src1_sel:WORD_1
	v_mov_b32_e32 v6, 1
	s_mov_b32 s5, exec_lo
	s_waitcnt lgkmcnt(0)
	v_cmp_gt_f16_e32 vcc_lo, v1, v2
	ds_write_b16 v4, v2 offset:928
	s_waitcnt lgkmcnt(0)
	s_barrier
	buffer_gl0_inv
	v_cmpx_ne_u32_e32 0x1cf, v0
	s_cbranch_execz .LBB51_14
; %bb.13:
	ds_read_u16 v1, v4 offset:930
	s_waitcnt lgkmcnt(0)
	v_cmp_lt_f16_sdwa s0, v1, v2 src0_sel:DWORD src1_sel:WORD_1
	v_cndmask_b32_e64 v6, 0, 1, s0
.LBB51_14:
	s_or_b32 exec_lo, exec_lo, s5
	v_cndmask_b32_e64 v3, 0, 1, s4
	v_cndmask_b32_e64 v1, 0, 1, vcc_lo
	s_cbranch_execnz .LBB51_27
.LBB51_15:
	v_cmp_ne_u32_e64 s0, 0, v0
	s_cmp_eq_u32 s1, 1
	s_cbranch_scc1 .LBB51_21
; %bb.16:
	s_add_i32 s4, s12, 0x3a0
	s_mov_b32 s5, 0
	v_mov_b32_e32 v1, 0
	s_lshl_b64 s[4:5], s[4:5], 1
	v_cmp_gt_f16_e32 vcc_lo, v2, v5
	s_add_u32 s4, s8, s4
	s_addc_u32 s5, s9, s5
	ds_write_b16 v4, v5
	global_load_ushort v6, v1, s[4:5]
	v_mov_b32_e32 v1, 1
	s_waitcnt vmcnt(0) lgkmcnt(0)
	s_barrier
	buffer_gl0_inv
	s_and_saveexec_b32 s1, s0
	s_cbranch_execz .LBB51_18
; %bb.17:
	v_add_nc_u32_e32 v1, -2, v4
	ds_read_u16 v1, v1
	s_waitcnt lgkmcnt(0)
	v_cmp_gt_f16_e64 s0, v1, v2
	v_cndmask_b32_e64 v1, 0, 1, s0
.LBB51_18:
	s_or_b32 exec_lo, exec_lo, s1
	s_mov_b32 s1, exec_lo
	ds_write_b16 v4, v2 offset:928
	s_waitcnt lgkmcnt(0)
	s_barrier
	buffer_gl0_inv
	v_cmpx_ne_u32_e32 0x1cf, v0
; %bb.19:
	ds_read_u16 v6, v4 offset:930
; %bb.20:
	s_or_b32 exec_lo, exec_lo, s1
	v_cndmask_b32_e64 v3, 0, 1, vcc_lo
	s_waitcnt lgkmcnt(0)
	v_cmp_lt_f16_e32 vcc_lo, v6, v5
	v_cndmask_b32_e64 v6, 0, 1, vcc_lo
	s_branch .LBB51_27
.LBB51_21:
                                        ; implicit-def: $vgpr1
                                        ; implicit-def: $vgpr6
	s_cbranch_execz .LBB51_27
; %bb.22:
	s_add_i32 s0, s12, -1
	s_mov_b32 s1, 0
	v_mov_b32_e32 v3, 0
	s_lshl_b64 s[4:5], s[0:1], 1
	s_add_u32 s4, s8, s4
	s_addc_u32 s5, s9, s5
	s_add_i32 s0, s12, 0x3a0
	s_lshl_b64 s[0:1], s[0:1], 1
	s_add_u32 s0, s8, s0
	s_addc_u32 s1, s9, s1
	s_clause 0x1
	global_load_ushort v1, v3, s[4:5]
	global_load_ushort v6, v3, s[0:1]
	s_mov_b32 s0, exec_lo
	ds_write_b16 v4, v5
	s_waitcnt vmcnt(0) lgkmcnt(0)
	s_barrier
	buffer_gl0_inv
	v_cmpx_ne_u32_e32 0, v0
; %bb.23:
	v_add_nc_u32_e32 v1, -2, v4
	ds_read_u16 v1, v1
; %bb.24:
	s_or_b32 exec_lo, exec_lo, s0
	s_mov_b32 s0, exec_lo
	ds_write_b16 v4, v2 offset:928
	s_waitcnt lgkmcnt(0)
	s_barrier
	buffer_gl0_inv
	v_cmpx_ne_u32_e32 0x1cf, v0
; %bb.25:
	ds_read_u16 v6, v4 offset:930
; %bb.26:
	s_or_b32 exec_lo, exec_lo, s0
	v_cmp_gt_f16_sdwa s0, v2, v2 src0_sel:DWORD src1_sel:WORD_1
	v_cmp_gt_f16_e32 vcc_lo, v1, v2
	v_cndmask_b32_e64 v3, 0, 1, s0
	s_waitcnt lgkmcnt(0)
	v_cmp_lt_f16_sdwa s0, v6, v2 src0_sel:DWORD src1_sel:WORD_1
	v_cndmask_b32_e64 v1, 0, 1, vcc_lo
	v_cndmask_b32_e64 v6, 0, 1, s0
.LBB51_27:
	v_mov_b32_e32 v2, 0
	s_lshl_b64 s[0:1], s[12:13], 3
	v_lshlrev_b32_e32 v0, 3, v4
	s_add_u32 s4, s10, s0
	s_addc_u32 s5, s11, s1
	v_mov_b32_e32 v4, v2
	s_add_u32 s0, s2, s0
	s_addc_u32 s1, s3, s1
	global_store_dwordx4 v0, v[1:4], s[4:5]
	v_mov_b32_e32 v1, v3
	v_mov_b32_e32 v3, v6
	global_store_dwordx4 v0, v[1:4], s[0:1]
	s_endpgm
	.section	.rodata,"a",@progbits
	.p2align	6, 0x0
	.amdhsa_kernel _Z27flag_heads_and_tails_kernelI6__halfjN10test_utils7greaterELj464ELj2EEvPT_PxS5_
		.amdhsa_group_segment_fixed_size 1856
		.amdhsa_private_segment_fixed_size 0
		.amdhsa_kernarg_size 24
		.amdhsa_user_sgpr_count 6
		.amdhsa_user_sgpr_private_segment_buffer 1
		.amdhsa_user_sgpr_dispatch_ptr 0
		.amdhsa_user_sgpr_queue_ptr 0
		.amdhsa_user_sgpr_kernarg_segment_ptr 1
		.amdhsa_user_sgpr_dispatch_id 0
		.amdhsa_user_sgpr_flat_scratch_init 0
		.amdhsa_user_sgpr_private_segment_size 0
		.amdhsa_wavefront_size32 1
		.amdhsa_uses_dynamic_stack 0
		.amdhsa_system_sgpr_private_segment_wavefront_offset 0
		.amdhsa_system_sgpr_workgroup_id_x 1
		.amdhsa_system_sgpr_workgroup_id_y 0
		.amdhsa_system_sgpr_workgroup_id_z 0
		.amdhsa_system_sgpr_workgroup_info 0
		.amdhsa_system_vgpr_workitem_id 0
		.amdhsa_next_free_vgpr 7
		.amdhsa_next_free_sgpr 14
		.amdhsa_reserve_vcc 1
		.amdhsa_reserve_flat_scratch 0
		.amdhsa_float_round_mode_32 0
		.amdhsa_float_round_mode_16_64 0
		.amdhsa_float_denorm_mode_32 3
		.amdhsa_float_denorm_mode_16_64 3
		.amdhsa_dx10_clamp 1
		.amdhsa_ieee_mode 1
		.amdhsa_fp16_overflow 0
		.amdhsa_workgroup_processor_mode 1
		.amdhsa_memory_ordered 1
		.amdhsa_forward_progress 1
		.amdhsa_shared_vgpr_count 0
		.amdhsa_exception_fp_ieee_invalid_op 0
		.amdhsa_exception_fp_denorm_src 0
		.amdhsa_exception_fp_ieee_div_zero 0
		.amdhsa_exception_fp_ieee_overflow 0
		.amdhsa_exception_fp_ieee_underflow 0
		.amdhsa_exception_fp_ieee_inexact 0
		.amdhsa_exception_int_div_zero 0
	.end_amdhsa_kernel
	.section	.text._Z27flag_heads_and_tails_kernelI6__halfjN10test_utils7greaterELj464ELj2EEvPT_PxS5_,"axG",@progbits,_Z27flag_heads_and_tails_kernelI6__halfjN10test_utils7greaterELj464ELj2EEvPT_PxS5_,comdat
.Lfunc_end51:
	.size	_Z27flag_heads_and_tails_kernelI6__halfjN10test_utils7greaterELj464ELj2EEvPT_PxS5_, .Lfunc_end51-_Z27flag_heads_and_tails_kernelI6__halfjN10test_utils7greaterELj464ELj2EEvPT_PxS5_
                                        ; -- End function
	.set _Z27flag_heads_and_tails_kernelI6__halfjN10test_utils7greaterELj464ELj2EEvPT_PxS5_.num_vgpr, 7
	.set _Z27flag_heads_and_tails_kernelI6__halfjN10test_utils7greaterELj464ELj2EEvPT_PxS5_.num_agpr, 0
	.set _Z27flag_heads_and_tails_kernelI6__halfjN10test_utils7greaterELj464ELj2EEvPT_PxS5_.numbered_sgpr, 14
	.set _Z27flag_heads_and_tails_kernelI6__halfjN10test_utils7greaterELj464ELj2EEvPT_PxS5_.num_named_barrier, 0
	.set _Z27flag_heads_and_tails_kernelI6__halfjN10test_utils7greaterELj464ELj2EEvPT_PxS5_.private_seg_size, 0
	.set _Z27flag_heads_and_tails_kernelI6__halfjN10test_utils7greaterELj464ELj2EEvPT_PxS5_.uses_vcc, 1
	.set _Z27flag_heads_and_tails_kernelI6__halfjN10test_utils7greaterELj464ELj2EEvPT_PxS5_.uses_flat_scratch, 0
	.set _Z27flag_heads_and_tails_kernelI6__halfjN10test_utils7greaterELj464ELj2EEvPT_PxS5_.has_dyn_sized_stack, 0
	.set _Z27flag_heads_and_tails_kernelI6__halfjN10test_utils7greaterELj464ELj2EEvPT_PxS5_.has_recursion, 0
	.set _Z27flag_heads_and_tails_kernelI6__halfjN10test_utils7greaterELj464ELj2EEvPT_PxS5_.has_indirect_call, 0
	.section	.AMDGPU.csdata,"",@progbits
; Kernel info:
; codeLenInByte = 940
; TotalNumSgprs: 16
; NumVgprs: 7
; ScratchSize: 0
; MemoryBound: 0
; FloatMode: 240
; IeeeMode: 1
; LDSByteSize: 1856 bytes/workgroup (compile time only)
; SGPRBlocks: 0
; VGPRBlocks: 0
; NumSGPRsForWavesPerEU: 16
; NumVGPRsForWavesPerEU: 7
; Occupancy: 16
; WaveLimiterHint : 0
; COMPUTE_PGM_RSRC2:SCRATCH_EN: 0
; COMPUTE_PGM_RSRC2:USER_SGPR: 6
; COMPUTE_PGM_RSRC2:TRAP_HANDLER: 0
; COMPUTE_PGM_RSRC2:TGID_X_EN: 1
; COMPUTE_PGM_RSRC2:TGID_Y_EN: 0
; COMPUTE_PGM_RSRC2:TGID_Z_EN: 0
; COMPUTE_PGM_RSRC2:TIDIG_COMP_CNT: 0
	.section	.text._Z27flag_heads_and_tails_kernelIdjN6hipcub8EqualityELj464ELj2EEvPT_PxS4_,"axG",@progbits,_Z27flag_heads_and_tails_kernelIdjN6hipcub8EqualityELj464ELj2EEvPT_PxS4_,comdat
	.protected	_Z27flag_heads_and_tails_kernelIdjN6hipcub8EqualityELj464ELj2EEvPT_PxS4_ ; -- Begin function _Z27flag_heads_and_tails_kernelIdjN6hipcub8EqualityELj464ELj2EEvPT_PxS4_
	.globl	_Z27flag_heads_and_tails_kernelIdjN6hipcub8EqualityELj464ELj2EEvPT_PxS4_
	.p2align	8
	.type	_Z27flag_heads_and_tails_kernelIdjN6hipcub8EqualityELj464ELj2EEvPT_PxS4_,@function
_Z27flag_heads_and_tails_kernelIdjN6hipcub8EqualityELj464ELj2EEvPT_PxS4_: ; @_Z27flag_heads_and_tails_kernelIdjN6hipcub8EqualityELj464ELj2EEvPT_PxS4_
; %bb.0:
	s_load_dwordx4 s[8:11], s[4:5], 0x0
	s_mul_i32 s12, s6, 0x3a0
	s_mov_b32 s13, 0
	v_lshlrev_b32_e32 v1, 4, v0
	s_lshl_b64 s[2:3], s[12:13], 3
	s_load_dwordx2 s[4:5], s[4:5], 0x10
	v_lshlrev_b32_e32 v10, 1, v0
	s_waitcnt lgkmcnt(0)
	s_add_u32 s0, s8, s2
	s_addc_u32 s1, s9, s3
	s_and_b32 s6, s6, 3
	global_load_dwordx4 v[1:4], v1, s[0:1]
	s_cmp_lt_i32 s6, 2
	s_cbranch_scc1 .LBB52_8
; %bb.1:
	s_cmp_gt_i32 s6, 2
	s_cbranch_scc0 .LBB52_9
; %bb.2:
	v_lshlrev_b32_e32 v6, 3, v0
	v_mov_b32_e32 v9, 1
	v_mov_b32_e32 v5, 1
	s_mov_b32 s1, exec_lo
	s_waitcnt vmcnt(0)
	v_cmp_eq_f64_e32 vcc_lo, v[1:2], v[3:4]
	ds_write_b64 v6, v[3:4]
	s_waitcnt lgkmcnt(0)
	s_barrier
	buffer_gl0_inv
	v_cmpx_ne_u32_e32 0, v0
	s_cbranch_execz .LBB52_4
; %bb.3:
	v_add_nc_u32_e32 v5, -8, v6
	ds_read_b64 v[7:8], v5
	s_waitcnt lgkmcnt(0)
	v_cmp_eq_f64_e64 s0, v[7:8], v[1:2]
	v_cndmask_b32_e64 v5, 0, 1, s0
.LBB52_4:
	s_or_b32 exec_lo, exec_lo, s1
	s_mov_b32 s1, exec_lo
	ds_write_b64 v6, v[1:2] offset:3712
	s_waitcnt lgkmcnt(0)
	s_barrier
	buffer_gl0_inv
	v_cmpx_ne_u32_e32 0x1cf, v0
	s_cbranch_execz .LBB52_6
; %bb.5:
	ds_read_b64 v[6:7], v6 offset:3720
	s_waitcnt lgkmcnt(0)
	v_cmp_eq_f64_e64 s0, v[3:4], v[6:7]
	v_cndmask_b32_e64 v9, 0, 1, s0
.LBB52_6:
	s_or_b32 exec_lo, exec_lo, s1
	v_cndmask_b32_e64 v7, 0, 1, vcc_lo
.LBB52_7:
	s_cbranch_execz .LBB52_15
	s_branch .LBB52_27
.LBB52_8:
                                        ; implicit-def: $vgpr5
                                        ; implicit-def: $vgpr9
	s_branch .LBB52_15
.LBB52_9:
                                        ; implicit-def: $vgpr5
                                        ; implicit-def: $vgpr9
	s_cbranch_execz .LBB52_7
; %bb.10:
	s_add_i32 s0, s12, -1
	s_mov_b32 s1, 0
	v_lshlrev_b32_e32 v7, 3, v0
	s_lshl_b64 s[0:1], s[0:1], 3
	s_add_u32 s0, s8, s0
	s_addc_u32 s1, s9, s1
	s_waitcnt vmcnt(0)
	ds_write_b64 v7, v[3:4]
	s_load_dwordx2 s[0:1], s[0:1], 0x0
	s_waitcnt lgkmcnt(0)
	s_barrier
	buffer_gl0_inv
	v_mov_b32_e32 v6, s1
	v_mov_b32_e32 v5, s0
	s_mov_b32 s0, exec_lo
	v_cmpx_ne_u32_e32 0, v0
; %bb.11:
	v_add_nc_u32_e32 v5, -8, v7
	ds_read_b64 v[5:6], v5
; %bb.12:
	s_or_b32 exec_lo, exec_lo, s0
	s_waitcnt lgkmcnt(0)
	v_cmp_eq_f64_e64 s0, v[5:6], v[1:2]
	v_mov_b32_e32 v9, 1
	s_mov_b32 s7, exec_lo
	v_cmp_eq_f64_e32 vcc_lo, v[1:2], v[3:4]
	ds_write_b64 v7, v[1:2] offset:3712
	s_waitcnt lgkmcnt(0)
	s_barrier
	buffer_gl0_inv
	v_cmpx_ne_u32_e32 0x1cf, v0
	s_cbranch_execz .LBB52_14
; %bb.13:
	ds_read_b64 v[5:6], v7 offset:3720
	s_waitcnt lgkmcnt(0)
	v_cmp_eq_f64_e64 s1, v[3:4], v[5:6]
	v_cndmask_b32_e64 v9, 0, 1, s1
.LBB52_14:
	s_or_b32 exec_lo, exec_lo, s7
	v_cndmask_b32_e64 v7, 0, 1, vcc_lo
	v_cndmask_b32_e64 v5, 0, 1, s0
	s_cbranch_execnz .LBB52_27
.LBB52_15:
	v_lshlrev_b32_e32 v11, 3, v0
	v_cmp_ne_u32_e64 s0, 0, v0
	s_cmp_eq_u32 s6, 1
	s_waitcnt vmcnt(0)
	v_cmp_eq_f64_e32 vcc_lo, v[1:2], v[3:4]
	s_cbranch_scc1 .LBB52_21
; %bb.16:
	s_add_i32 s6, s12, 0x3a0
	s_mov_b32 s7, 0
	v_mov_b32_e32 v5, 1
	s_lshl_b64 s[6:7], s[6:7], 3
	ds_write_b64 v11, v[3:4]
	s_add_u32 s6, s8, s6
	s_addc_u32 s7, s9, s7
	s_load_dwordx2 s[6:7], s[6:7], 0x0
	s_waitcnt lgkmcnt(0)
	s_barrier
	buffer_gl0_inv
	s_and_saveexec_b32 s1, s0
	s_cbranch_execz .LBB52_18
; %bb.17:
	v_add_nc_u32_e32 v5, -8, v11
	ds_read_b64 v[5:6], v5
	s_waitcnt lgkmcnt(0)
	v_cmp_eq_f64_e64 s0, v[5:6], v[1:2]
	v_cndmask_b32_e64 v5, 0, 1, s0
.LBB52_18:
	s_or_b32 exec_lo, exec_lo, s1
	v_mov_b32_e32 v9, s7
	v_mov_b32_e32 v8, s6
	s_mov_b32 s1, exec_lo
	ds_write_b64 v11, v[1:2] offset:3712
	s_waitcnt lgkmcnt(0)
	s_barrier
	buffer_gl0_inv
	v_cmpx_ne_u32_e32 0x1cf, v0
; %bb.19:
	ds_read_b64 v[8:9], v11 offset:3720
; %bb.20:
	s_or_b32 exec_lo, exec_lo, s1
	v_cndmask_b32_e64 v7, 0, 1, vcc_lo
	s_waitcnt lgkmcnt(0)
	v_cmp_eq_f64_e32 vcc_lo, v[3:4], v[8:9]
	v_cndmask_b32_e64 v9, 0, 1, vcc_lo
	s_branch .LBB52_27
.LBB52_21:
                                        ; implicit-def: $vgpr5
                                        ; implicit-def: $vgpr9
	s_cbranch_execz .LBB52_27
; %bb.22:
	s_add_i32 s0, s12, -1
	s_mov_b32 s1, 0
	ds_write_b64 v11, v[3:4]
	s_lshl_b64 s[6:7], s[0:1], 3
	s_add_u32 s6, s8, s6
	s_addc_u32 s7, s9, s7
	s_add_i32 s0, s12, 0x3a0
	s_load_dwordx2 s[6:7], s[6:7], 0x0
	s_lshl_b64 s[0:1], s[0:1], 3
	s_add_u32 s0, s8, s0
	s_addc_u32 s1, s9, s1
	s_load_dwordx2 s[0:1], s[0:1], 0x0
	s_waitcnt lgkmcnt(0)
	s_barrier
	buffer_gl0_inv
	v_mov_b32_e32 v5, s6
	v_mov_b32_e32 v6, s7
	s_mov_b32 s6, exec_lo
	v_cmpx_ne_u32_e32 0, v0
; %bb.23:
	v_add_nc_u32_e32 v5, -8, v11
	ds_read_b64 v[5:6], v5
; %bb.24:
	s_or_b32 exec_lo, exec_lo, s6
	v_mov_b32_e32 v9, s1
	v_mov_b32_e32 v8, s0
	s_mov_b32 s0, exec_lo
	ds_write_b64 v11, v[1:2] offset:3712
	s_waitcnt lgkmcnt(0)
	s_barrier
	buffer_gl0_inv
	v_cmpx_ne_u32_e32 0x1cf, v0
; %bb.25:
	ds_read_b64 v[8:9], v11 offset:3720
; %bb.26:
	s_or_b32 exec_lo, exec_lo, s0
	v_cmp_eq_f64_e32 vcc_lo, v[1:2], v[3:4]
	v_cndmask_b32_e64 v7, 0, 1, vcc_lo
	v_cmp_eq_f64_e32 vcc_lo, v[5:6], v[1:2]
	v_cndmask_b32_e64 v5, 0, 1, vcc_lo
	s_waitcnt lgkmcnt(0)
	v_cmp_eq_f64_e32 vcc_lo, v[3:4], v[8:9]
	v_cndmask_b32_e64 v9, 0, 1, vcc_lo
.LBB52_27:
	v_mov_b32_e32 v6, 0
	v_lshlrev_b32_e32 v0, 3, v10
	s_add_u32 s0, s10, s2
	s_addc_u32 s1, s11, s3
	v_mov_b32_e32 v8, v6
	global_store_dwordx4 v0, v[5:8], s[0:1]
	v_mov_b32_e32 v5, v7
	v_mov_b32_e32 v7, v9
	s_add_u32 s0, s4, s2
	s_addc_u32 s1, s5, s3
	global_store_dwordx4 v0, v[5:8], s[0:1]
	s_endpgm
	.section	.rodata,"a",@progbits
	.p2align	6, 0x0
	.amdhsa_kernel _Z27flag_heads_and_tails_kernelIdjN6hipcub8EqualityELj464ELj2EEvPT_PxS4_
		.amdhsa_group_segment_fixed_size 7424
		.amdhsa_private_segment_fixed_size 0
		.amdhsa_kernarg_size 24
		.amdhsa_user_sgpr_count 6
		.amdhsa_user_sgpr_private_segment_buffer 1
		.amdhsa_user_sgpr_dispatch_ptr 0
		.amdhsa_user_sgpr_queue_ptr 0
		.amdhsa_user_sgpr_kernarg_segment_ptr 1
		.amdhsa_user_sgpr_dispatch_id 0
		.amdhsa_user_sgpr_flat_scratch_init 0
		.amdhsa_user_sgpr_private_segment_size 0
		.amdhsa_wavefront_size32 1
		.amdhsa_uses_dynamic_stack 0
		.amdhsa_system_sgpr_private_segment_wavefront_offset 0
		.amdhsa_system_sgpr_workgroup_id_x 1
		.amdhsa_system_sgpr_workgroup_id_y 0
		.amdhsa_system_sgpr_workgroup_id_z 0
		.amdhsa_system_sgpr_workgroup_info 0
		.amdhsa_system_vgpr_workitem_id 0
		.amdhsa_next_free_vgpr 12
		.amdhsa_next_free_sgpr 14
		.amdhsa_reserve_vcc 1
		.amdhsa_reserve_flat_scratch 0
		.amdhsa_float_round_mode_32 0
		.amdhsa_float_round_mode_16_64 0
		.amdhsa_float_denorm_mode_32 3
		.amdhsa_float_denorm_mode_16_64 3
		.amdhsa_dx10_clamp 1
		.amdhsa_ieee_mode 1
		.amdhsa_fp16_overflow 0
		.amdhsa_workgroup_processor_mode 1
		.amdhsa_memory_ordered 1
		.amdhsa_forward_progress 1
		.amdhsa_shared_vgpr_count 0
		.amdhsa_exception_fp_ieee_invalid_op 0
		.amdhsa_exception_fp_denorm_src 0
		.amdhsa_exception_fp_ieee_div_zero 0
		.amdhsa_exception_fp_ieee_overflow 0
		.amdhsa_exception_fp_ieee_underflow 0
		.amdhsa_exception_fp_ieee_inexact 0
		.amdhsa_exception_int_div_zero 0
	.end_amdhsa_kernel
	.section	.text._Z27flag_heads_and_tails_kernelIdjN6hipcub8EqualityELj464ELj2EEvPT_PxS4_,"axG",@progbits,_Z27flag_heads_and_tails_kernelIdjN6hipcub8EqualityELj464ELj2EEvPT_PxS4_,comdat
.Lfunc_end52:
	.size	_Z27flag_heads_and_tails_kernelIdjN6hipcub8EqualityELj464ELj2EEvPT_PxS4_, .Lfunc_end52-_Z27flag_heads_and_tails_kernelIdjN6hipcub8EqualityELj464ELj2EEvPT_PxS4_
                                        ; -- End function
	.set _Z27flag_heads_and_tails_kernelIdjN6hipcub8EqualityELj464ELj2EEvPT_PxS4_.num_vgpr, 12
	.set _Z27flag_heads_and_tails_kernelIdjN6hipcub8EqualityELj464ELj2EEvPT_PxS4_.num_agpr, 0
	.set _Z27flag_heads_and_tails_kernelIdjN6hipcub8EqualityELj464ELj2EEvPT_PxS4_.numbered_sgpr, 14
	.set _Z27flag_heads_and_tails_kernelIdjN6hipcub8EqualityELj464ELj2EEvPT_PxS4_.num_named_barrier, 0
	.set _Z27flag_heads_and_tails_kernelIdjN6hipcub8EqualityELj464ELj2EEvPT_PxS4_.private_seg_size, 0
	.set _Z27flag_heads_and_tails_kernelIdjN6hipcub8EqualityELj464ELj2EEvPT_PxS4_.uses_vcc, 1
	.set _Z27flag_heads_and_tails_kernelIdjN6hipcub8EqualityELj464ELj2EEvPT_PxS4_.uses_flat_scratch, 0
	.set _Z27flag_heads_and_tails_kernelIdjN6hipcub8EqualityELj464ELj2EEvPT_PxS4_.has_dyn_sized_stack, 0
	.set _Z27flag_heads_and_tails_kernelIdjN6hipcub8EqualityELj464ELj2EEvPT_PxS4_.has_recursion, 0
	.set _Z27flag_heads_and_tails_kernelIdjN6hipcub8EqualityELj464ELj2EEvPT_PxS4_.has_indirect_call, 0
	.section	.AMDGPU.csdata,"",@progbits
; Kernel info:
; codeLenInByte = 956
; TotalNumSgprs: 16
; NumVgprs: 12
; ScratchSize: 0
; MemoryBound: 0
; FloatMode: 240
; IeeeMode: 1
; LDSByteSize: 7424 bytes/workgroup (compile time only)
; SGPRBlocks: 0
; VGPRBlocks: 1
; NumSGPRsForWavesPerEU: 16
; NumVGPRsForWavesPerEU: 12
; Occupancy: 15
; WaveLimiterHint : 0
; COMPUTE_PGM_RSRC2:SCRATCH_EN: 0
; COMPUTE_PGM_RSRC2:USER_SGPR: 6
; COMPUTE_PGM_RSRC2:TRAP_HANDLER: 0
; COMPUTE_PGM_RSRC2:TGID_X_EN: 1
; COMPUTE_PGM_RSRC2:TGID_Y_EN: 0
; COMPUTE_PGM_RSRC2:TGID_Z_EN: 0
; COMPUTE_PGM_RSRC2:TIDIG_COMP_CNT: 0
	.section	.text._Z27flag_heads_and_tails_kernelIdi15custom_flag_op2IdELj33ELj5EEvPT_PxS4_,"axG",@progbits,_Z27flag_heads_and_tails_kernelIdi15custom_flag_op2IdELj33ELj5EEvPT_PxS4_,comdat
	.protected	_Z27flag_heads_and_tails_kernelIdi15custom_flag_op2IdELj33ELj5EEvPT_PxS4_ ; -- Begin function _Z27flag_heads_and_tails_kernelIdi15custom_flag_op2IdELj33ELj5EEvPT_PxS4_
	.globl	_Z27flag_heads_and_tails_kernelIdi15custom_flag_op2IdELj33ELj5EEvPT_PxS4_
	.p2align	8
	.type	_Z27flag_heads_and_tails_kernelIdi15custom_flag_op2IdELj33ELj5EEvPT_PxS4_,@function
_Z27flag_heads_and_tails_kernelIdi15custom_flag_op2IdELj33ELj5EEvPT_PxS4_: ; @_Z27flag_heads_and_tails_kernelIdi15custom_flag_op2IdELj33ELj5EEvPT_PxS4_
; %bb.0:
	s_clause 0x1
	s_load_dwordx4 s[8:11], s[4:5], 0x0
	s_load_dwordx2 s[14:15], s[4:5], 0x10
	v_mul_u32_u24_e32 v1, 5, v0
	s_mul_i32 s16, s6, 0xa5
	s_mov_b32 s17, 0
	s_lshl_b64 s[12:13], s[16:17], 3
	v_lshlrev_b32_e32 v22, 3, v1
	s_waitcnt lgkmcnt(0)
	s_add_u32 s0, s8, s12
	s_addc_u32 s1, s9, s13
	s_and_b32 s5, s6, 3
	s_clause 0x2
	global_load_dwordx2 v[17:18], v22, s[0:1] offset:32
	global_load_dwordx4 v[8:11], v22, s[0:1] offset:16
	global_load_dwordx4 v[1:4], v22, s[0:1]
	s_cmp_lt_i32 s5, 2
	s_cbranch_scc1 .LBB53_8
; %bb.1:
	s_cmp_gt_i32 s5, 2
	s_cbranch_scc0 .LBB53_9
; %bb.2:
	s_waitcnt vmcnt(1)
	v_add_f64 v[12:13], v[8:9], -v[10:11]
	s_waitcnt vmcnt(0)
	v_add_f64 v[14:15], v[3:4], -v[8:9]
	v_add_f64 v[19:20], v[1:2], -v[3:4]
	;; [unrolled: 1-line block ×3, first 2 shown]
	s_mov_b32 s4, exec_lo
	v_cmp_lt_f64_e64 s0, 0x40140000, v[12:13]
	v_cmp_lt_f64_e64 s1, 0x40140000, v[14:15]
	;; [unrolled: 1-line block ×3, first 2 shown]
	v_cmp_lt_f64_e32 vcc_lo, 0x40140000, v[5:6]
	v_lshlrev_b32_e32 v6, 3, v0
	v_mov_b32_e32 v19, 1
	v_mov_b32_e32 v5, 1
	ds_write_b64 v6, v[17:18]
	s_waitcnt lgkmcnt(0)
	s_barrier
	buffer_gl0_inv
	v_cmpx_ne_u32_e32 0, v0
	s_cbranch_execz .LBB53_4
; %bb.3:
	v_add_nc_u32_e32 v5, -8, v6
	ds_read_b64 v[12:13], v5
	s_waitcnt lgkmcnt(0)
	v_add_f64 v[12:13], v[12:13], -v[1:2]
	v_cmp_lt_f64_e64 s3, 0x40140000, v[12:13]
	v_cndmask_b32_e64 v5, 0, 1, s3
.LBB53_4:
	s_or_b32 exec_lo, exec_lo, s4
	s_mov_b32 s4, exec_lo
	ds_write_b64 v6, v[1:2] offset:264
	s_waitcnt lgkmcnt(0)
	s_barrier
	buffer_gl0_inv
	v_cmpx_ne_u32_e32 32, v0
	s_cbranch_execz .LBB53_6
; %bb.5:
	ds_read_b64 v[6:7], v6 offset:272
	s_waitcnt lgkmcnt(0)
	v_add_f64 v[6:7], v[17:18], -v[6:7]
	v_cmp_lt_f64_e64 s3, 0x40140000, v[6:7]
	v_cndmask_b32_e64 v19, 0, 1, s3
.LBB53_6:
	s_or_b32 exec_lo, exec_lo, s4
	v_cndmask_b32_e64 v12, 0, 1, vcc_lo
	v_cndmask_b32_e64 v16, 0, 1, s0
	v_cndmask_b32_e64 v14, 0, 1, s1
	;; [unrolled: 1-line block ×3, first 2 shown]
.LBB53_7:
	s_cbranch_execz .LBB53_15
	s_branch .LBB53_27
.LBB53_8:
                                        ; implicit-def: $vgpr5
                                        ; implicit-def: $vgpr19
                                        ; implicit-def: $vgpr12
                                        ; implicit-def: $vgpr16
	s_branch .LBB53_15
.LBB53_9:
                                        ; implicit-def: $vgpr5
                                        ; implicit-def: $vgpr19
                                        ; implicit-def: $vgpr12
                                        ; implicit-def: $vgpr16
	s_cbranch_execz .LBB53_7
; %bb.10:
	s_add_i32 s0, s16, -1
	s_mov_b32 s1, 0
	v_lshlrev_b32_e32 v7, 3, v0
	s_lshl_b64 s[0:1], s[0:1], 3
	s_add_u32 s0, s8, s0
	s_addc_u32 s1, s9, s1
	s_waitcnt vmcnt(2)
	ds_write_b64 v7, v[17:18]
	s_load_dwordx2 s[0:1], s[0:1], 0x0
	s_waitcnt vmcnt(0) lgkmcnt(0)
	s_barrier
	buffer_gl0_inv
	v_mov_b32_e32 v6, s1
	v_mov_b32_e32 v5, s0
	s_mov_b32 s0, exec_lo
	v_cmpx_ne_u32_e32 0, v0
; %bb.11:
	v_add_nc_u32_e32 v5, -8, v7
	ds_read_b64 v[5:6], v5
; %bb.12:
	s_or_b32 exec_lo, exec_lo, s0
	v_add_f64 v[14:15], v[8:9], -v[10:11]
	v_add_f64 v[19:20], v[3:4], -v[8:9]
	;; [unrolled: 1-line block ×3, first 2 shown]
	s_waitcnt lgkmcnt(0)
	v_add_f64 v[5:6], v[5:6], -v[1:2]
	v_add_f64 v[12:13], v[10:11], -v[17:18]
	s_mov_b32 s6, exec_lo
	ds_write_b64 v7, v[1:2] offset:264
	s_waitcnt lgkmcnt(0)
	s_barrier
	buffer_gl0_inv
	v_cmp_lt_f64_e64 s0, 0x40140000, v[14:15]
	v_cmp_lt_f64_e64 s1, 0x40140000, v[19:20]
	;; [unrolled: 1-line block ×4, first 2 shown]
	v_mov_b32_e32 v19, 1
	v_cmp_lt_f64_e32 vcc_lo, 0x40140000, v[12:13]
	v_cmpx_ne_u32_e32 32, v0
	s_cbranch_execz .LBB53_14
; %bb.13:
	ds_read_b64 v[5:6], v7 offset:272
	s_waitcnt lgkmcnt(0)
	v_add_f64 v[5:6], v[17:18], -v[5:6]
	v_cmp_lt_f64_e64 s4, 0x40140000, v[5:6]
	v_cndmask_b32_e64 v19, 0, 1, s4
.LBB53_14:
	s_or_b32 exec_lo, exec_lo, s6
	v_cndmask_b32_e64 v12, 0, 1, vcc_lo
	v_cndmask_b32_e64 v16, 0, 1, s0
	v_cndmask_b32_e64 v14, 0, 1, s1
	;; [unrolled: 1-line block ×4, first 2 shown]
	s_cbranch_execnz .LBB53_27
.LBB53_15:
	s_waitcnt vmcnt(1)
	v_add_f64 v[20:21], v[10:11], -v[17:18]
	v_add_f64 v[10:11], v[8:9], -v[10:11]
	s_waitcnt vmcnt(0)
	v_add_f64 v[8:9], v[3:4], -v[8:9]
	v_add_f64 v[3:4], v[1:2], -v[3:4]
	v_lshlrev_b32_e32 v15, 3, v0
	v_cmp_ne_u32_e64 s3, 0, v0
	s_cmp_eq_u32 s5, 1
	v_cmp_lt_f64_e32 vcc_lo, 0x40140000, v[20:21]
	v_cmp_lt_f64_e64 s0, 0x40140000, v[10:11]
	v_cmp_lt_f64_e64 s1, 0x40140000, v[8:9]
	;; [unrolled: 1-line block ×3, first 2 shown]
	s_cbranch_scc1 .LBB53_21
; %bb.16:
	s_add_i32 s4, s16, 0xa5
	s_mov_b32 s5, 0
	v_mov_b32_e32 v5, 1
	s_lshl_b64 s[4:5], s[4:5], 3
	ds_write_b64 v15, v[17:18]
	s_add_u32 s4, s8, s4
	s_addc_u32 s5, s9, s5
	s_load_dwordx2 s[4:5], s[4:5], 0x0
	s_waitcnt lgkmcnt(0)
	s_barrier
	buffer_gl0_inv
	s_and_saveexec_b32 s6, s3
	s_cbranch_execz .LBB53_18
; %bb.17:
	v_add_nc_u32_e32 v5, -8, v15
	ds_read_b64 v[5:6], v5
	s_waitcnt lgkmcnt(0)
	v_add_f64 v[5:6], v[5:6], -v[1:2]
	v_cmp_lt_f64_e64 s3, 0x40140000, v[5:6]
	v_cndmask_b32_e64 v5, 0, 1, s3
.LBB53_18:
	s_or_b32 exec_lo, exec_lo, s6
	v_mov_b32_e32 v7, s5
	v_mov_b32_e32 v6, s4
	s_mov_b32 s4, exec_lo
	ds_write_b64 v15, v[1:2] offset:264
	s_waitcnt lgkmcnt(0)
	s_barrier
	buffer_gl0_inv
	v_cmpx_ne_u32_e32 32, v0
; %bb.19:
	ds_read_b64 v[6:7], v15 offset:272
; %bb.20:
	s_or_b32 exec_lo, exec_lo, s4
	s_waitcnt lgkmcnt(0)
	v_add_f64 v[23:24], v[17:18], -v[6:7]
	v_cndmask_b32_e64 v12, 0, 1, vcc_lo
	v_cndmask_b32_e64 v16, 0, 1, s0
	v_cndmask_b32_e64 v14, 0, 1, s1
	;; [unrolled: 1-line block ×3, first 2 shown]
	v_cmp_lt_f64_e32 vcc_lo, 0x40140000, v[23:24]
	v_cndmask_b32_e64 v19, 0, 1, vcc_lo
	s_branch .LBB53_27
.LBB53_21:
                                        ; implicit-def: $vgpr5
                                        ; implicit-def: $vgpr19
                                        ; implicit-def: $vgpr12
                                        ; implicit-def: $vgpr16
	s_cbranch_execz .LBB53_27
; %bb.22:
	s_add_i32 s0, s16, -1
	s_mov_b32 s1, 0
	ds_write_b64 v15, v[17:18]
	s_lshl_b64 s[2:3], s[0:1], 3
	s_add_u32 s2, s8, s2
	s_addc_u32 s3, s9, s3
	s_add_i32 s0, s16, 0xa5
	s_load_dwordx2 s[2:3], s[2:3], 0x0
	s_lshl_b64 s[0:1], s[0:1], 3
	s_add_u32 s0, s8, s0
	s_addc_u32 s1, s9, s1
	s_load_dwordx2 s[0:1], s[0:1], 0x0
	s_waitcnt lgkmcnt(0)
	s_barrier
	buffer_gl0_inv
	v_mov_b32_e32 v6, s3
	v_mov_b32_e32 v5, s2
	s_mov_b32 s2, exec_lo
	v_cmpx_ne_u32_e32 0, v0
; %bb.23:
	v_add_nc_u32_e32 v5, -8, v15
	ds_read_b64 v[5:6], v5
; %bb.24:
	s_or_b32 exec_lo, exec_lo, s2
	v_mov_b32_e32 v13, s1
	v_mov_b32_e32 v12, s0
	s_mov_b32 s0, exec_lo
	ds_write_b64 v15, v[1:2] offset:264
	s_waitcnt lgkmcnt(0)
	s_barrier
	buffer_gl0_inv
	v_cmpx_ne_u32_e32 32, v0
; %bb.25:
	ds_read_b64 v[12:13], v15 offset:272
; %bb.26:
	s_or_b32 exec_lo, exec_lo, s0
	v_cmp_lt_f64_e32 vcc_lo, 0x40140000, v[20:21]
	s_waitcnt lgkmcnt(0)
	v_add_f64 v[17:18], v[17:18], -v[12:13]
	v_add_f64 v[0:1], v[5:6], -v[1:2]
	v_cndmask_b32_e64 v12, 0, 1, vcc_lo
	v_cmp_lt_f64_e32 vcc_lo, 0x40140000, v[10:11]
	v_cndmask_b32_e64 v16, 0, 1, vcc_lo
	v_cmp_lt_f64_e32 vcc_lo, 0x40140000, v[8:9]
	;; [unrolled: 2-line block ×5, first 2 shown]
	v_cndmask_b32_e64 v19, 0, 1, vcc_lo
.LBB53_27:
	s_waitcnt vmcnt(2)
	v_ashrrev_i32_e32 v17, 31, v16
	s_waitcnt vmcnt(1)
	v_ashrrev_i32_e32 v8, 31, v7
	v_ashrrev_i32_e32 v15, 31, v14
	;; [unrolled: 1-line block ×4, first 2 shown]
	v_mov_b32_e32 v10, v16
	v_mov_b32_e32 v11, v17
	s_add_u32 s0, s10, s12
	v_mov_b32_e32 v0, v7
	s_waitcnt vmcnt(0)
	v_mov_b32_e32 v1, v8
	v_mov_b32_e32 v2, v14
	v_mov_b32_e32 v3, v15
	s_addc_u32 s1, s11, s13
	s_add_u32 s2, s14, s12
	v_ashrrev_i32_e32 v20, 31, v19
	s_addc_u32 s3, s15, s13
	global_store_dwordx4 v22, v[5:8], s[0:1]
	global_store_dwordx4 v22, v[14:17], s[0:1] offset:16
	global_store_dwordx2 v22, v[12:13], s[0:1] offset:32
	global_store_dwordx4 v22, v[0:3], s[2:3]
	global_store_dwordx4 v22, v[10:13], s[2:3] offset:16
	global_store_dwordx2 v22, v[19:20], s[2:3] offset:32
	s_endpgm
	.section	.rodata,"a",@progbits
	.p2align	6, 0x0
	.amdhsa_kernel _Z27flag_heads_and_tails_kernelIdi15custom_flag_op2IdELj33ELj5EEvPT_PxS4_
		.amdhsa_group_segment_fixed_size 528
		.amdhsa_private_segment_fixed_size 0
		.amdhsa_kernarg_size 24
		.amdhsa_user_sgpr_count 6
		.amdhsa_user_sgpr_private_segment_buffer 1
		.amdhsa_user_sgpr_dispatch_ptr 0
		.amdhsa_user_sgpr_queue_ptr 0
		.amdhsa_user_sgpr_kernarg_segment_ptr 1
		.amdhsa_user_sgpr_dispatch_id 0
		.amdhsa_user_sgpr_flat_scratch_init 0
		.amdhsa_user_sgpr_private_segment_size 0
		.amdhsa_wavefront_size32 1
		.amdhsa_uses_dynamic_stack 0
		.amdhsa_system_sgpr_private_segment_wavefront_offset 0
		.amdhsa_system_sgpr_workgroup_id_x 1
		.amdhsa_system_sgpr_workgroup_id_y 0
		.amdhsa_system_sgpr_workgroup_id_z 0
		.amdhsa_system_sgpr_workgroup_info 0
		.amdhsa_system_vgpr_workitem_id 0
		.amdhsa_next_free_vgpr 25
		.amdhsa_next_free_sgpr 18
		.amdhsa_reserve_vcc 1
		.amdhsa_reserve_flat_scratch 0
		.amdhsa_float_round_mode_32 0
		.amdhsa_float_round_mode_16_64 0
		.amdhsa_float_denorm_mode_32 3
		.amdhsa_float_denorm_mode_16_64 3
		.amdhsa_dx10_clamp 1
		.amdhsa_ieee_mode 1
		.amdhsa_fp16_overflow 0
		.amdhsa_workgroup_processor_mode 1
		.amdhsa_memory_ordered 1
		.amdhsa_forward_progress 1
		.amdhsa_shared_vgpr_count 0
		.amdhsa_exception_fp_ieee_invalid_op 0
		.amdhsa_exception_fp_denorm_src 0
		.amdhsa_exception_fp_ieee_div_zero 0
		.amdhsa_exception_fp_ieee_overflow 0
		.amdhsa_exception_fp_ieee_underflow 0
		.amdhsa_exception_fp_ieee_inexact 0
		.amdhsa_exception_int_div_zero 0
	.end_amdhsa_kernel
	.section	.text._Z27flag_heads_and_tails_kernelIdi15custom_flag_op2IdELj33ELj5EEvPT_PxS4_,"axG",@progbits,_Z27flag_heads_and_tails_kernelIdi15custom_flag_op2IdELj33ELj5EEvPT_PxS4_,comdat
.Lfunc_end53:
	.size	_Z27flag_heads_and_tails_kernelIdi15custom_flag_op2IdELj33ELj5EEvPT_PxS4_, .Lfunc_end53-_Z27flag_heads_and_tails_kernelIdi15custom_flag_op2IdELj33ELj5EEvPT_PxS4_
                                        ; -- End function
	.set _Z27flag_heads_and_tails_kernelIdi15custom_flag_op2IdELj33ELj5EEvPT_PxS4_.num_vgpr, 25
	.set _Z27flag_heads_and_tails_kernelIdi15custom_flag_op2IdELj33ELj5EEvPT_PxS4_.num_agpr, 0
	.set _Z27flag_heads_and_tails_kernelIdi15custom_flag_op2IdELj33ELj5EEvPT_PxS4_.numbered_sgpr, 18
	.set _Z27flag_heads_and_tails_kernelIdi15custom_flag_op2IdELj33ELj5EEvPT_PxS4_.num_named_barrier, 0
	.set _Z27flag_heads_and_tails_kernelIdi15custom_flag_op2IdELj33ELj5EEvPT_PxS4_.private_seg_size, 0
	.set _Z27flag_heads_and_tails_kernelIdi15custom_flag_op2IdELj33ELj5EEvPT_PxS4_.uses_vcc, 1
	.set _Z27flag_heads_and_tails_kernelIdi15custom_flag_op2IdELj33ELj5EEvPT_PxS4_.uses_flat_scratch, 0
	.set _Z27flag_heads_and_tails_kernelIdi15custom_flag_op2IdELj33ELj5EEvPT_PxS4_.has_dyn_sized_stack, 0
	.set _Z27flag_heads_and_tails_kernelIdi15custom_flag_op2IdELj33ELj5EEvPT_PxS4_.has_recursion, 0
	.set _Z27flag_heads_and_tails_kernelIdi15custom_flag_op2IdELj33ELj5EEvPT_PxS4_.has_indirect_call, 0
	.section	.AMDGPU.csdata,"",@progbits
; Kernel info:
; codeLenInByte = 1480
; TotalNumSgprs: 20
; NumVgprs: 25
; ScratchSize: 0
; MemoryBound: 0
; FloatMode: 240
; IeeeMode: 1
; LDSByteSize: 528 bytes/workgroup (compile time only)
; SGPRBlocks: 0
; VGPRBlocks: 3
; NumSGPRsForWavesPerEU: 20
; NumVGPRsForWavesPerEU: 25
; Occupancy: 16
; WaveLimiterHint : 0
; COMPUTE_PGM_RSRC2:SCRATCH_EN: 0
; COMPUTE_PGM_RSRC2:USER_SGPR: 6
; COMPUTE_PGM_RSRC2:TRAP_HANDLER: 0
; COMPUTE_PGM_RSRC2:TGID_X_EN: 1
; COMPUTE_PGM_RSRC2:TGID_Y_EN: 0
; COMPUTE_PGM_RSRC2:TGID_Z_EN: 0
; COMPUTE_PGM_RSRC2:TIDIG_COMP_CNT: 0
	.section	.text._Z27flag_heads_and_tails_kernelIssN6hipcub8EqualityELj512ELj8EEvPT_PxS4_,"axG",@progbits,_Z27flag_heads_and_tails_kernelIssN6hipcub8EqualityELj512ELj8EEvPT_PxS4_,comdat
	.protected	_Z27flag_heads_and_tails_kernelIssN6hipcub8EqualityELj512ELj8EEvPT_PxS4_ ; -- Begin function _Z27flag_heads_and_tails_kernelIssN6hipcub8EqualityELj512ELj8EEvPT_PxS4_
	.globl	_Z27flag_heads_and_tails_kernelIssN6hipcub8EqualityELj512ELj8EEvPT_PxS4_
	.p2align	8
	.type	_Z27flag_heads_and_tails_kernelIssN6hipcub8EqualityELj512ELj8EEvPT_PxS4_,@function
_Z27flag_heads_and_tails_kernelIssN6hipcub8EqualityELj512ELj8EEvPT_PxS4_: ; @_Z27flag_heads_and_tails_kernelIssN6hipcub8EqualityELj512ELj8EEvPT_PxS4_
; %bb.0:
	s_clause 0x1
	s_load_dwordx4 s[8:11], s[4:5], 0x0
	s_load_dwordx2 s[2:3], s[4:5], 0x10
	s_lshl_b32 s12, s6, 12
	s_mov_b32 s13, 0
	v_lshlrev_b32_e32 v1, 4, v0
	s_lshl_b64 s[0:1], s[12:13], 1
	v_lshlrev_b32_e32 v5, 3, v0
	s_waitcnt lgkmcnt(0)
	s_add_u32 s0, s8, s0
	s_addc_u32 s1, s9, s1
	global_load_dwordx4 v[1:4], v1, s[0:1]
	s_and_b32 s1, s6, 3
	s_cmp_lt_i32 s1, 2
	s_waitcnt vmcnt(0)
	v_lshrrev_b32_e32 v6, 16, v4
	s_cbranch_scc1 .LBB54_8
; %bb.1:
	s_cmp_gt_i32 s1, 2
	s_cbranch_scc0 .LBB54_9
; %bb.2:
	v_cmp_eq_u16_sdwa s0, v3, v3 src0_sel:DWORD src1_sel:WORD_1
	v_cmp_eq_u16_e32 vcc_lo, v4, v6
	v_lshlrev_b32_e32 v15, 1, v0
	v_cndmask_b32_e64 v10, 0, 1, s0
	v_cmp_eq_u16_sdwa s0, v2, v3 src0_sel:WORD_1 src1_sel:DWORD
	v_cndmask_b32_e64 v8, 0, 1, vcc_lo
	ds_write_b16 v15, v6
	s_waitcnt lgkmcnt(0)
	s_barrier
	v_cndmask_b32_e64 v12, 0, 1, s0
	v_cmp_eq_u16_sdwa s0, v2, v2 src0_sel:DWORD src1_sel:WORD_1
	buffer_gl0_inv
	v_perm_b32 v9, v10, v12, 0x5040100
	v_cndmask_b32_e64 v16, 0, 1, s0
	v_cmp_eq_u16_sdwa s0, v1, v1 src0_sel:DWORD src1_sel:WORD_1
	v_cndmask_b32_e64 v14, 0, 1, s0
	v_cmp_eq_u16_sdwa s0, v1, v2 src0_sel:WORD_1 src1_sel:DWORD
	v_perm_b32 v13, v14, 1, 0x5040100
	v_cndmask_b32_e64 v18, 0, 1, s0
	v_cmp_eq_u16_sdwa s0, v3, v4 src0_sel:WORD_1 src1_sel:DWORD
	v_perm_b32 v11, v16, v18, 0x5040100
	v_cndmask_b32_e64 v17, 0, 1, s0
	s_mov_b32 s0, exec_lo
	v_perm_b32 v7, v8, v17, 0x5040100
	v_cmpx_ne_u32_e32 0, v0
	s_cbranch_execz .LBB54_4
; %bb.3:
	v_add_nc_u32_e32 v19, -2, v15
	ds_read_u16 v19, v19
	s_waitcnt lgkmcnt(0)
	v_cmp_eq_u16_e32 vcc_lo, v19, v1
	v_cndmask_b32_e64 v19, 0, 1, vcc_lo
	v_bfi_b32 v13, 0xffff, v19, v13
.LBB54_4:
	s_or_b32 exec_lo, exec_lo, s0
	v_perm_b32 v14, v18, v14, 0x5040100
	v_perm_b32 v12, v12, v16, 0x5040100
	;; [unrolled: 1-line block ×4, first 2 shown]
	s_mov_b32 s0, exec_lo
	ds_write_b16 v15, v1 offset:1024
	s_waitcnt lgkmcnt(0)
	s_barrier
	buffer_gl0_inv
	v_cmpx_ne_u32_e32 0x1ff, v0
	s_cbranch_execz .LBB54_6
; %bb.5:
	ds_read_u16 v15, v15 offset:1026
	s_waitcnt lgkmcnt(0)
	v_cmp_eq_u16_e32 vcc_lo, v6, v15
	v_cndmask_b32_e64 v15, 0, 1, vcc_lo
	v_perm_b32 v8, v15, v8, 0x5040100
.LBB54_6:
	s_or_b32 exec_lo, exec_lo, s0
.LBB54_7:
	s_cbranch_execz .LBB54_15
	s_branch .LBB54_27
.LBB54_8:
                                        ; implicit-def: $vgpr7
                                        ; implicit-def: $vgpr9
                                        ; implicit-def: $vgpr11
                                        ; implicit-def: $vgpr13
                                        ; implicit-def: $vgpr8
                                        ; implicit-def: $vgpr10
                                        ; implicit-def: $vgpr12
                                        ; implicit-def: $vgpr14
	s_branch .LBB54_15
.LBB54_9:
                                        ; implicit-def: $vgpr7
                                        ; implicit-def: $vgpr9
                                        ; implicit-def: $vgpr11
                                        ; implicit-def: $vgpr13
                                        ; implicit-def: $vgpr8
                                        ; implicit-def: $vgpr10
                                        ; implicit-def: $vgpr12
                                        ; implicit-def: $vgpr14
	s_cbranch_execz .LBB54_7
; %bb.10:
	s_add_i32 s4, s12, -1
	s_mov_b32 s5, 0
	v_mov_b32_e32 v7, 0
	s_lshl_b64 s[4:5], s[4:5], 1
	s_mov_b32 s0, exec_lo
	s_add_u32 s4, s8, s4
	s_addc_u32 s5, s9, s5
	global_load_ushort v8, v7, s[4:5]
	v_lshlrev_b32_e32 v7, 1, v0
	ds_write_b16 v7, v6
	s_waitcnt vmcnt(0) lgkmcnt(0)
	s_barrier
	buffer_gl0_inv
	v_cmpx_ne_u32_e32 0, v0
; %bb.11:
	v_add_nc_u32_e32 v8, -2, v7
	ds_read_u16 v8, v8
; %bb.12:
	s_or_b32 exec_lo, exec_lo, s0
	v_cmp_eq_u16_sdwa s0, v3, v4 src0_sel:WORD_1 src1_sel:DWORD
	v_cmp_eq_u16_e32 vcc_lo, v4, v6
	ds_write_b16 v7, v1 offset:1024
	s_waitcnt lgkmcnt(0)
	s_barrier
	v_cndmask_b32_e64 v16, 0, 1, s0
	v_cmp_eq_u16_sdwa s0, v2, v3 src0_sel:WORD_1 src1_sel:DWORD
	v_cndmask_b32_e64 v15, 0, 1, vcc_lo
	v_cmp_eq_u16_e32 vcc_lo, v8, v1
	buffer_gl0_inv
	v_cndmask_b32_e64 v9, 0, 1, s0
	v_cmp_eq_u16_sdwa s0, v2, v2 src0_sel:DWORD src1_sel:WORD_1
	v_cndmask_b32_e64 v19, 0, 1, vcc_lo
	v_perm_b32 v8, 1, v15, 0x5040100
	v_cndmask_b32_e64 v11, 0, 1, s0
	v_cmp_eq_u16_sdwa s0, v1, v2 src0_sel:WORD_1 src1_sel:DWORD
	v_perm_b32 v12, v9, v11, 0x5040100
	v_cndmask_b32_e64 v17, 0, 1, s0
	v_cmp_eq_u16_sdwa s0, v1, v1 src0_sel:DWORD src1_sel:WORD_1
	v_cndmask_b32_e64 v13, 0, 1, s0
	v_cmp_eq_u16_sdwa s0, v3, v3 src0_sel:DWORD src1_sel:WORD_1
	v_perm_b32 v14, v17, v13, 0x5040100
	v_cndmask_b32_e64 v18, 0, 1, s0
	s_mov_b32 s0, exec_lo
	v_perm_b32 v10, v16, v18, 0x5040100
	v_cmpx_ne_u32_e32 0x1ff, v0
	s_cbranch_execz .LBB54_14
; %bb.13:
	ds_read_u16 v7, v7 offset:1026
	s_waitcnt lgkmcnt(0)
	v_cmp_eq_u16_e32 vcc_lo, v6, v7
	v_cndmask_b32_e64 v7, 0, 1, vcc_lo
	v_perm_b32 v8, v7, v8, 0x5040100
.LBB54_14:
	s_or_b32 exec_lo, exec_lo, s0
	v_perm_b32 v13, v13, v19, 0x5040100
	v_perm_b32 v11, v11, v17, 0x5040100
	;; [unrolled: 1-line block ×4, first 2 shown]
	s_cbranch_execnz .LBB54_27
.LBB54_15:
	v_cmp_eq_u16_e64 s0, v4, v6
	v_cmp_eq_u16_sdwa s4, v3, v4 src0_sel:WORD_1 src1_sel:DWORD
	v_cmp_eq_u16_sdwa s7, v3, v3 src0_sel:DWORD src1_sel:WORD_1
	v_cmp_eq_u16_sdwa s5, v2, v3 src0_sel:WORD_1 src1_sel:DWORD
	v_cmp_eq_u16_sdwa s14, v2, v2 src0_sel:DWORD src1_sel:WORD_1
	;; [unrolled: 2-line block ×3, first 2 shown]
	v_lshlrev_b32_e32 v15, 1, v0
	s_cmp_eq_u32 s1, 1
	v_cmp_ne_u32_e32 vcc_lo, 0, v0
	s_cbranch_scc1 .LBB54_21
; %bb.16:
	s_add_i32 s16, s12, 0x1000
	s_mov_b32 s17, 0
	v_mov_b32_e32 v7, 0
	s_lshl_b64 s[16:17], s[16:17], 1
	v_cndmask_b32_e64 v8, 0, 1, s0
	s_add_u32 s16, s8, s16
	s_addc_u32 s17, s9, s17
	v_cndmask_b32_e64 v10, 0, 1, s7
	global_load_ushort v12, v7, s[16:17]
	v_cndmask_b32_e64 v16, 0, 1, s14
	v_cndmask_b32_e64 v14, 0, 1, s15
	;; [unrolled: 1-line block ×5, first 2 shown]
	ds_write_b16 v15, v6
	v_perm_b32 v13, v14, 1, 0x5040100
	v_perm_b32 v11, v16, v19, 0x5040100
	v_perm_b32 v9, v10, v18, 0x5040100
	v_perm_b32 v7, v8, v17, 0x5040100
	s_waitcnt vmcnt(0) lgkmcnt(0)
	s_barrier
	buffer_gl0_inv
	s_and_saveexec_b32 s0, vcc_lo
	s_cbranch_execz .LBB54_18
; %bb.17:
	v_add_nc_u32_e32 v20, -2, v15
	ds_read_u16 v20, v20
	s_waitcnt lgkmcnt(0)
	v_cmp_eq_u16_e32 vcc_lo, v20, v1
	v_cndmask_b32_e64 v20, 0, 1, vcc_lo
	v_bfi_b32 v13, 0xffff, v20, v13
.LBB54_18:
	s_or_b32 exec_lo, exec_lo, s0
	s_mov_b32 s0, exec_lo
	ds_write_b16 v15, v1 offset:1024
	s_waitcnt lgkmcnt(0)
	s_barrier
	buffer_gl0_inv
	v_cmpx_ne_u32_e32 0x1ff, v0
; %bb.19:
	ds_read_u16 v12, v15 offset:1026
; %bb.20:
	s_or_b32 exec_lo, exec_lo, s0
	s_waitcnt lgkmcnt(0)
	v_cmp_eq_u16_e32 vcc_lo, v6, v12
	v_perm_b32 v14, v19, v14, 0x5040100
	v_perm_b32 v12, v18, v16, 0x5040100
	;; [unrolled: 1-line block ×3, first 2 shown]
	v_cndmask_b32_e64 v20, 0, 1, vcc_lo
	v_perm_b32 v8, v20, v8, 0x5040100
	s_branch .LBB54_27
.LBB54_21:
                                        ; implicit-def: $vgpr7
                                        ; implicit-def: $vgpr9
                                        ; implicit-def: $vgpr11
                                        ; implicit-def: $vgpr13
                                        ; implicit-def: $vgpr8
                                        ; implicit-def: $vgpr10
                                        ; implicit-def: $vgpr12
                                        ; implicit-def: $vgpr14
	s_cbranch_execz .LBB54_27
; %bb.22:
	s_add_i32 s0, s12, -1
	s_mov_b32 s1, 0
	v_mov_b32_e32 v8, 0
	s_lshl_b64 s[4:5], s[0:1], 1
	s_add_u32 s4, s8, s4
	s_addc_u32 s5, s9, s5
	s_add_i32 s0, s12, 0x1000
	s_lshl_b64 s[0:1], s[0:1], 1
	s_add_u32 s0, s8, s0
	s_addc_u32 s1, s9, s1
	s_clause 0x1
	global_load_ushort v7, v8, s[4:5]
	global_load_ushort v8, v8, s[0:1]
	s_mov_b32 s0, exec_lo
	ds_write_b16 v15, v6
	s_waitcnt vmcnt(0) lgkmcnt(0)
	s_barrier
	buffer_gl0_inv
	v_cmpx_ne_u32_e32 0, v0
; %bb.23:
	v_add_nc_u32_e32 v7, -2, v15
	ds_read_u16 v7, v7
; %bb.24:
	s_or_b32 exec_lo, exec_lo, s0
	s_mov_b32 s0, exec_lo
	ds_write_b16 v15, v1 offset:1024
	s_waitcnt lgkmcnt(0)
	s_barrier
	buffer_gl0_inv
	v_cmpx_ne_u32_e32 0x1ff, v0
; %bb.25:
	ds_read_u16 v8, v15 offset:1026
; %bb.26:
	s_or_b32 exec_lo, exec_lo, s0
	v_cmp_eq_u16_sdwa s0, v3, v4 src0_sel:WORD_1 src1_sel:DWORD
	v_cmp_eq_u16_e32 vcc_lo, v4, v6
	v_cndmask_b32_e64 v4, 0, 1, s0
	v_cmp_eq_u16_sdwa s0, v3, v3 src0_sel:DWORD src1_sel:WORD_1
	v_cndmask_b32_e64 v0, 0, 1, vcc_lo
	s_waitcnt lgkmcnt(0)
	v_cmp_eq_u16_e32 vcc_lo, v6, v8
	v_cndmask_b32_e64 v9, 0, 1, s0
	v_cmp_eq_u16_sdwa s0, v2, v3 src0_sel:WORD_1 src1_sel:DWORD
	v_cndmask_b32_e64 v6, 0, 1, vcc_lo
	v_cmp_eq_u16_e32 vcc_lo, v7, v1
	v_perm_b32 v7, v0, v4, 0x5040100
	v_perm_b32 v10, v4, v9, 0x5040100
	v_cndmask_b32_e64 v3, 0, 1, s0
	v_cmp_eq_u16_sdwa s0, v2, v2 src0_sel:DWORD src1_sel:WORD_1
	v_perm_b32 v8, v6, v0, 0x5040100
	v_perm_b32 v9, v9, v3, 0x5040100
	v_cndmask_b32_e64 v11, 0, 1, s0
	v_cmp_eq_u16_sdwa s0, v1, v2 src0_sel:WORD_1 src1_sel:DWORD
	v_perm_b32 v12, v3, v11, 0x5040100
	v_cndmask_b32_e64 v2, 0, 1, s0
	v_cmp_eq_u16_sdwa s0, v1, v1 src0_sel:DWORD src1_sel:WORD_1
	v_cndmask_b32_e64 v1, 0, 1, vcc_lo
	v_perm_b32 v11, v11, v2, 0x5040100
	v_cndmask_b32_e64 v13, 0, 1, s0
	v_perm_b32 v14, v2, v13, 0x5040100
	v_perm_b32 v13, v13, v1, 0x5040100
.LBB54_27:
	v_lshrrev_b32_e32 v1, 16, v13
	v_lshrrev_b32_e32 v3, 16, v11
	;; [unrolled: 1-line block ×3, first 2 shown]
	v_bfe_i32 v0, v13, 0, 16
	v_bfe_i32 v15, v11, 0, 16
	;; [unrolled: 1-line block ×6, first 2 shown]
	s_lshl_b64 s[4:5], s[12:13], 3
	v_lshlrev_b32_e32 v23, 3, v5
	v_ashrrev_i32_e32 v1, 31, v0
	v_ashrrev_i32_e32 v3, 31, v2
	v_lshrrev_b32_e32 v4, 16, v7
	v_ashrrev_i32_e32 v16, 31, v15
	v_ashrrev_i32_e32 v18, 31, v17
	s_add_u32 s0, s10, s4
	v_ashrrev_i32_e32 v20, 31, v19
	v_ashrrev_i32_e32 v22, 31, v21
	s_addc_u32 s1, s11, s5
	v_lshrrev_b32_e32 v5, 16, v14
	v_lshrrev_b32_e32 v9, 16, v12
	global_store_dwordx4 v23, v[0:3], s[0:1]
	v_bfe_i32 v2, v4, 0, 16
	v_bfe_i32 v4, v14, 0, 16
	v_lshrrev_b32_e32 v14, 16, v10
	global_store_dwordx4 v23, v[15:18], s[0:1] offset:16
	global_store_dwordx4 v23, v[19:22], s[0:1] offset:32
	v_lshrrev_b32_e32 v16, 16, v8
	v_bfe_i32 v0, v7, 0, 16
	v_bfe_i32 v6, v5, 0, 16
	;; [unrolled: 1-line block ×8, first 2 shown]
	v_ashrrev_i32_e32 v1, 31, v0
	v_ashrrev_i32_e32 v3, 31, v2
	;; [unrolled: 1-line block ×6, first 2 shown]
	s_add_u32 s2, s2, s4
	v_ashrrev_i32_e32 v16, 31, v15
	v_ashrrev_i32_e32 v18, 31, v17
	s_addc_u32 s3, s3, s5
	v_ashrrev_i32_e32 v20, 31, v19
	v_ashrrev_i32_e32 v22, 31, v21
	global_store_dwordx4 v23, v[0:3], s[0:1] offset:48
	global_store_dwordx4 v23, v[4:7], s[2:3]
	global_store_dwordx4 v23, v[11:14], s[2:3] offset:16
	global_store_dwordx4 v23, v[15:18], s[2:3] offset:32
	;; [unrolled: 1-line block ×3, first 2 shown]
	s_endpgm
	.section	.rodata,"a",@progbits
	.p2align	6, 0x0
	.amdhsa_kernel _Z27flag_heads_and_tails_kernelIssN6hipcub8EqualityELj512ELj8EEvPT_PxS4_
		.amdhsa_group_segment_fixed_size 2048
		.amdhsa_private_segment_fixed_size 0
		.amdhsa_kernarg_size 24
		.amdhsa_user_sgpr_count 6
		.amdhsa_user_sgpr_private_segment_buffer 1
		.amdhsa_user_sgpr_dispatch_ptr 0
		.amdhsa_user_sgpr_queue_ptr 0
		.amdhsa_user_sgpr_kernarg_segment_ptr 1
		.amdhsa_user_sgpr_dispatch_id 0
		.amdhsa_user_sgpr_flat_scratch_init 0
		.amdhsa_user_sgpr_private_segment_size 0
		.amdhsa_wavefront_size32 1
		.amdhsa_uses_dynamic_stack 0
		.amdhsa_system_sgpr_private_segment_wavefront_offset 0
		.amdhsa_system_sgpr_workgroup_id_x 1
		.amdhsa_system_sgpr_workgroup_id_y 0
		.amdhsa_system_sgpr_workgroup_id_z 0
		.amdhsa_system_sgpr_workgroup_info 0
		.amdhsa_system_vgpr_workitem_id 0
		.amdhsa_next_free_vgpr 24
		.amdhsa_next_free_sgpr 18
		.amdhsa_reserve_vcc 1
		.amdhsa_reserve_flat_scratch 0
		.amdhsa_float_round_mode_32 0
		.amdhsa_float_round_mode_16_64 0
		.amdhsa_float_denorm_mode_32 3
		.amdhsa_float_denorm_mode_16_64 3
		.amdhsa_dx10_clamp 1
		.amdhsa_ieee_mode 1
		.amdhsa_fp16_overflow 0
		.amdhsa_workgroup_processor_mode 1
		.amdhsa_memory_ordered 1
		.amdhsa_forward_progress 1
		.amdhsa_shared_vgpr_count 0
		.amdhsa_exception_fp_ieee_invalid_op 0
		.amdhsa_exception_fp_denorm_src 0
		.amdhsa_exception_fp_ieee_div_zero 0
		.amdhsa_exception_fp_ieee_overflow 0
		.amdhsa_exception_fp_ieee_underflow 0
		.amdhsa_exception_fp_ieee_inexact 0
		.amdhsa_exception_int_div_zero 0
	.end_amdhsa_kernel
	.section	.text._Z27flag_heads_and_tails_kernelIssN6hipcub8EqualityELj512ELj8EEvPT_PxS4_,"axG",@progbits,_Z27flag_heads_and_tails_kernelIssN6hipcub8EqualityELj512ELj8EEvPT_PxS4_,comdat
.Lfunc_end54:
	.size	_Z27flag_heads_and_tails_kernelIssN6hipcub8EqualityELj512ELj8EEvPT_PxS4_, .Lfunc_end54-_Z27flag_heads_and_tails_kernelIssN6hipcub8EqualityELj512ELj8EEvPT_PxS4_
                                        ; -- End function
	.set _Z27flag_heads_and_tails_kernelIssN6hipcub8EqualityELj512ELj8EEvPT_PxS4_.num_vgpr, 24
	.set _Z27flag_heads_and_tails_kernelIssN6hipcub8EqualityELj512ELj8EEvPT_PxS4_.num_agpr, 0
	.set _Z27flag_heads_and_tails_kernelIssN6hipcub8EqualityELj512ELj8EEvPT_PxS4_.numbered_sgpr, 18
	.set _Z27flag_heads_and_tails_kernelIssN6hipcub8EqualityELj512ELj8EEvPT_PxS4_.num_named_barrier, 0
	.set _Z27flag_heads_and_tails_kernelIssN6hipcub8EqualityELj512ELj8EEvPT_PxS4_.private_seg_size, 0
	.set _Z27flag_heads_and_tails_kernelIssN6hipcub8EqualityELj512ELj8EEvPT_PxS4_.uses_vcc, 1
	.set _Z27flag_heads_and_tails_kernelIssN6hipcub8EqualityELj512ELj8EEvPT_PxS4_.uses_flat_scratch, 0
	.set _Z27flag_heads_and_tails_kernelIssN6hipcub8EqualityELj512ELj8EEvPT_PxS4_.has_dyn_sized_stack, 0
	.set _Z27flag_heads_and_tails_kernelIssN6hipcub8EqualityELj512ELj8EEvPT_PxS4_.has_recursion, 0
	.set _Z27flag_heads_and_tails_kernelIssN6hipcub8EqualityELj512ELj8EEvPT_PxS4_.has_indirect_call, 0
	.section	.AMDGPU.csdata,"",@progbits
; Kernel info:
; codeLenInByte = 1972
; TotalNumSgprs: 20
; NumVgprs: 24
; ScratchSize: 0
; MemoryBound: 0
; FloatMode: 240
; IeeeMode: 1
; LDSByteSize: 2048 bytes/workgroup (compile time only)
; SGPRBlocks: 0
; VGPRBlocks: 2
; NumSGPRsForWavesPerEU: 20
; NumVGPRsForWavesPerEU: 24
; Occupancy: 16
; WaveLimiterHint : 0
; COMPUTE_PGM_RSRC2:SCRATCH_EN: 0
; COMPUTE_PGM_RSRC2:USER_SGPR: 6
; COMPUTE_PGM_RSRC2:TRAP_HANDLER: 0
; COMPUTE_PGM_RSRC2:TGID_X_EN: 1
; COMPUTE_PGM_RSRC2:TGID_Y_EN: 0
; COMPUTE_PGM_RSRC2:TGID_Z_EN: 0
; COMPUTE_PGM_RSRC2:TIDIG_COMP_CNT: 0
	.section	.text._Z27flag_heads_and_tails_kernelIth15custom_flag_op2ItELj256ELj7EEvPT_PxS4_,"axG",@progbits,_Z27flag_heads_and_tails_kernelIth15custom_flag_op2ItELj256ELj7EEvPT_PxS4_,comdat
	.protected	_Z27flag_heads_and_tails_kernelIth15custom_flag_op2ItELj256ELj7EEvPT_PxS4_ ; -- Begin function _Z27flag_heads_and_tails_kernelIth15custom_flag_op2ItELj256ELj7EEvPT_PxS4_
	.globl	_Z27flag_heads_and_tails_kernelIth15custom_flag_op2ItELj256ELj7EEvPT_PxS4_
	.p2align	8
	.type	_Z27flag_heads_and_tails_kernelIth15custom_flag_op2ItELj256ELj7EEvPT_PxS4_,@function
_Z27flag_heads_and_tails_kernelIth15custom_flag_op2ItELj256ELj7EEvPT_PxS4_: ; @_Z27flag_heads_and_tails_kernelIth15custom_flag_op2ItELj256ELj7EEvPT_PxS4_
; %bb.0:
	s_clause 0x1
	s_load_dwordx4 s[8:11], s[4:5], 0x0
	s_load_dwordx2 s[2:3], s[4:5], 0x10
	v_mul_u32_u24_e32 v6, 7, v0
	s_mul_i32 s12, s6, 0x700
	s_mov_b32 s13, 0
	s_lshl_b64 s[0:1], s[12:13], 1
	v_lshlrev_b32_e32 v4, 1, v6
	s_waitcnt lgkmcnt(0)
	s_add_u32 s0, s8, s0
	s_addc_u32 s1, s9, s1
	s_clause 0x1
	global_load_dwordx3 v[1:3], v4, s[0:1] offset:2
	global_load_dwordx2 v[4:5], v4, s[0:1]
	s_and_b32 s1, s6, 3
	s_cmp_lt_i32 s1, 2
	s_waitcnt vmcnt(1)
	v_lshrrev_b32_e32 v7, 16, v3
	s_cbranch_scc1 .LBB55_8
; %bb.1:
	s_cmp_gt_i32 s1, 2
	s_cbranch_scc0 .LBB55_9
; %bb.2:
	s_waitcnt vmcnt(0)
	v_sub_nc_u32_sdwa v8, v5, v5 dst_sel:DWORD dst_unused:UNUSED_PAD src0_sel:WORD_0 src1_sel:WORD_1
	v_sub_nc_u32_sdwa v10, v4, v4 dst_sel:DWORD dst_unused:UNUSED_PAD src0_sel:WORD_0 src1_sel:WORD_1
	v_mov_b32_e32 v13, 0xffff
	v_sub_nc_u32_sdwa v14, v4, v5 dst_sel:DWORD dst_unused:UNUSED_PAD src0_sel:WORD_1 src1_sel:WORD_0
	v_sub_nc_u32_sdwa v9, v3, v7 dst_sel:DWORD dst_unused:UNUSED_PAD src0_sel:WORD_0 src1_sel:WORD_0
	v_cmp_lt_i32_e32 vcc_lo, 5, v8
	v_lshlrev_b32_e32 v11, 1, v0
	s_mov_b32 s4, exec_lo
	v_cndmask_b32_e64 v8, 0, 1, vcc_lo
	v_cmp_lt_i32_e32 vcc_lo, 5, v10
	v_and_b32_sdwa v10, v13, v2 dst_sel:DWORD dst_unused:UNUSED_PAD src0_sel:DWORD src1_sel:WORD_1
	ds_write_b16 v11, v7
	s_waitcnt lgkmcnt(0)
	s_barrier
	v_cndmask_b32_e64 v12, 0, 1, vcc_lo
	v_cmp_lt_i32_e32 vcc_lo, 5, v14
	v_sub_nc_u32_sdwa v16, v10, v3 dst_sel:DWORD dst_unused:UNUSED_PAD src0_sel:DWORD src1_sel:WORD_0
	v_lshlrev_b16 v14, 8, v8
	buffer_gl0_inv
	v_lshlrev_b16 v15, 8, v12
	v_cndmask_b32_e64 v13, 0, 1, vcc_lo
	v_cmp_lt_i32_e32 vcc_lo, 5, v9
	v_sub_nc_u32_sdwa v9, v5, v10 dst_sel:DWORD dst_unused:UNUSED_PAD src0_sel:WORD_1 src1_sel:DWORD
	v_cmp_lt_i32_e64 s0, 5, v16
	v_or_b32_e32 v15, 1, v15
	v_or_b32_sdwa v14, v13, v14 dst_sel:WORD_1 dst_unused:UNUSED_PAD src0_sel:DWORD src1_sel:DWORD
	v_cndmask_b32_e64 v10, 0, 1, s0
	v_cmp_lt_i32_e64 s0, 5, v9
	v_or_b32_sdwa v15, v15, v14 dst_sel:DWORD dst_unused:UNUSED_PAD src0_sel:WORD_0 src1_sel:DWORD
	v_cndmask_b32_e64 v9, 0, 1, s0
	v_cmpx_ne_u32_e32 0, v0
	s_cbranch_execz .LBB55_4
; %bb.3:
	v_add_nc_u32_e32 v14, -2, v11
	v_mov_b32_e32 v16, 8
	v_mov_b32_e32 v17, 24
	;; [unrolled: 1-line block ×3, first 2 shown]
	ds_read_u16 v14, v14
	v_lshrrev_b32_sdwa v16, v16, v15 dst_sel:BYTE_1 dst_unused:UNUSED_PAD src0_sel:DWORD src1_sel:DWORD
	v_lshrrev_b32_sdwa v17, v17, v15 dst_sel:BYTE_1 dst_unused:UNUSED_PAD src0_sel:DWORD src1_sel:DWORD
	v_and_b32_sdwa v15, v15, v18 dst_sel:DWORD dst_unused:UNUSED_PAD src0_sel:WORD_1 src1_sel:DWORD
	v_or_b32_sdwa v15, v15, v17 dst_sel:WORD_1 dst_unused:UNUSED_PAD src0_sel:DWORD src1_sel:DWORD
	s_waitcnt lgkmcnt(0)
	v_sub_nc_u32_sdwa v14, v14, v4 dst_sel:DWORD dst_unused:UNUSED_PAD src0_sel:DWORD src1_sel:WORD_0
	v_cmp_lt_i32_e64 s0, 5, v14
	v_cndmask_b32_e64 v14, 0, 1, s0
	v_or_b32_e32 v14, v14, v16
	v_or_b32_sdwa v15, v14, v15 dst_sel:DWORD dst_unused:UNUSED_PAD src0_sel:WORD_0 src1_sel:DWORD
.LBB55_4:
	s_or_b32 exec_lo, exec_lo, s4
	v_lshlrev_b16 v13, 8, v13
	v_lshlrev_b16 v14, 8, v9
	s_mov_b32 s0, exec_lo
	ds_write_b16 v11, v4 offset:512
	s_waitcnt lgkmcnt(0)
	v_or_b32_e32 v12, v12, v13
	v_or_b32_sdwa v13, v8, v14 dst_sel:WORD_1 dst_unused:UNUSED_PAD src0_sel:DWORD src1_sel:DWORD
	v_cndmask_b32_e64 v8, 0, 1, vcc_lo
	s_barrier
	buffer_gl0_inv
	v_or_b32_sdwa v14, v12, v13 dst_sel:DWORD dst_unused:UNUSED_PAD src0_sel:WORD_0 src1_sel:DWORD
	v_mov_b32_e32 v13, 1
	v_cmpx_ne_u32_e32 0xff, v0
	s_cbranch_execz .LBB55_6
; %bb.5:
	ds_read_u16 v11, v11 offset:514
	v_perm_b32 v14, v14, v14, 0x3020104
	s_waitcnt lgkmcnt(0)
	v_sub_nc_u32_sdwa v11, v7, v11 dst_sel:DWORD dst_unused:UNUSED_PAD src0_sel:WORD_0 src1_sel:DWORD
	v_cmp_lt_i32_e32 vcc_lo, 5, v11
	v_cndmask_b32_e64 v13, 0, 1, vcc_lo
.LBB55_6:
	s_or_b32 exec_lo, exec_lo, s0
.LBB55_7:
	s_cbranch_execz .LBB55_15
	s_branch .LBB55_27
.LBB55_8:
                                        ; implicit-def: $vgpr9
                                        ; implicit-def: $vgpr15
                                        ; implicit-def: $vgpr13
                                        ; implicit-def: $vgpr8
                                        ; implicit-def: $vgpr10
                                        ; implicit-def: $vgpr14
	s_branch .LBB55_15
.LBB55_9:
                                        ; implicit-def: $vgpr9
                                        ; implicit-def: $vgpr15
                                        ; implicit-def: $vgpr13
                                        ; implicit-def: $vgpr8
                                        ; implicit-def: $vgpr10
                                        ; implicit-def: $vgpr14
	s_cbranch_execz .LBB55_7
; %bb.10:
	s_add_i32 s4, s12, -1
	s_mov_b32 s5, 0
	v_mov_b32_e32 v8, 0
	s_lshl_b64 s[4:5], s[4:5], 1
	v_lshlrev_b32_e32 v11, 1, v0
	s_add_u32 s4, s8, s4
	s_addc_u32 s5, s9, s5
	s_mov_b32 s0, exec_lo
	global_load_ushort v8, v8, s[4:5]
	ds_write_b16 v11, v7
	s_waitcnt vmcnt(0) lgkmcnt(0)
	s_barrier
	buffer_gl0_inv
	v_cmpx_ne_u32_e32 0, v0
; %bb.11:
	v_add_nc_u32_e32 v8, -2, v11
	ds_read_u16 v8, v8
; %bb.12:
	s_or_b32 exec_lo, exec_lo, s0
	v_mov_b32_e32 v9, 0xffff
	v_sub_nc_u32_sdwa v10, v3, v7 dst_sel:DWORD dst_unused:UNUSED_PAD src0_sel:WORD_0 src1_sel:WORD_0
	s_waitcnt lgkmcnt(0)
	v_sub_nc_u32_sdwa v15, v8, v4 dst_sel:DWORD dst_unused:UNUSED_PAD src0_sel:WORD_0 src1_sel:WORD_0
	v_sub_nc_u32_sdwa v12, v5, v5 dst_sel:DWORD dst_unused:UNUSED_PAD src0_sel:WORD_0 src1_sel:WORD_1
	v_sub_nc_u32_sdwa v14, v4, v4 dst_sel:DWORD dst_unused:UNUSED_PAD src0_sel:WORD_0 src1_sel:WORD_1
	v_and_b32_sdwa v13, v9, v2 dst_sel:DWORD dst_unused:UNUSED_PAD src0_sel:DWORD src1_sel:WORD_1
	v_sub_nc_u32_sdwa v9, v4, v5 dst_sel:DWORD dst_unused:UNUSED_PAD src0_sel:WORD_1 src1_sel:WORD_0
	v_cmp_lt_i32_e64 s0, 5, v10
	v_cmp_ne_u32_e32 vcc_lo, 0xff, v0
	ds_write_b16 v11, v4 offset:512
	v_sub_nc_u32_sdwa v16, v5, v13 dst_sel:DWORD dst_unused:UNUSED_PAD src0_sel:WORD_1 src1_sel:DWORD
	v_sub_nc_u32_sdwa v13, v13, v3 dst_sel:DWORD dst_unused:UNUSED_PAD src0_sel:DWORD src1_sel:WORD_0
	v_cndmask_b32_e64 v8, 0, 1, s0
	v_cmp_lt_i32_e64 s0, 5, v9
	s_waitcnt lgkmcnt(0)
	s_barrier
	buffer_gl0_inv
	v_cndmask_b32_e64 v17, 0, 1, s0
	v_cmp_lt_i32_e64 s0, 5, v16
	v_cndmask_b32_e64 v9, 0, 1, s0
	v_cmp_lt_i32_e64 s0, 5, v12
	v_lshlrev_b16 v16, 8, v9
	v_cndmask_b32_e64 v10, 0, 1, s0
	v_cmp_lt_i32_e64 s0, 5, v14
	v_lshlrev_b16 v14, 8, v17
	v_or_b32_sdwa v16, v10, v16 dst_sel:WORD_1 dst_unused:UNUSED_PAD src0_sel:DWORD src1_sel:DWORD
	v_cndmask_b32_e64 v12, 0, 1, s0
	v_cmp_lt_i32_e64 s0, 5, v15
	v_lshlrev_b16 v18, 8, v10
	v_or_b32_e32 v14, v12, v14
	v_cndmask_b32_e64 v15, 0, 1, s0
	v_lshlrev_b16 v19, 8, v12
	v_cmp_lt_i32_e64 s0, 5, v13
	v_or_b32_sdwa v12, v17, v18 dst_sel:WORD_1 dst_unused:UNUSED_PAD src0_sel:DWORD src1_sel:DWORD
	v_or_b32_sdwa v14, v14, v16 dst_sel:DWORD dst_unused:UNUSED_PAD src0_sel:WORD_0 src1_sel:DWORD
	v_mov_b32_e32 v13, 1
	v_or_b32_e32 v15, v15, v19
	v_cndmask_b32_e64 v10, 0, 1, s0
	s_and_saveexec_b32 s0, vcc_lo
	s_cbranch_execz .LBB55_14
; %bb.13:
	ds_read_u16 v11, v11 offset:514
	v_perm_b32 v14, v14, v14, 0x3020104
	s_waitcnt lgkmcnt(0)
	v_sub_nc_u32_sdwa v11, v7, v11 dst_sel:DWORD dst_unused:UNUSED_PAD src0_sel:WORD_0 src1_sel:DWORD
	v_cmp_lt_i32_e32 vcc_lo, 5, v11
	v_cndmask_b32_e64 v13, 0, 1, vcc_lo
.LBB55_14:
	s_or_b32 exec_lo, exec_lo, s0
	v_or_b32_sdwa v15, v15, v12 dst_sel:DWORD dst_unused:UNUSED_PAD src0_sel:WORD_0 src1_sel:DWORD
	s_cbranch_execnz .LBB55_27
.LBB55_15:
	v_lshlrev_b32_e32 v12, 1, v0
	v_sub_nc_u32_sdwa v11, v3, v7 dst_sel:DWORD dst_unused:UNUSED_PAD src0_sel:WORD_0 src1_sel:WORD_0
	s_cmp_eq_u32 s1, 1
	v_cmp_ne_u32_e32 vcc_lo, 0, v0
	s_cbranch_scc1 .LBB55_21
; %bb.16:
	s_add_i32 s0, s12, 0x700
	s_mov_b32 s1, 0
	v_mov_b32_e32 v8, 0
	s_lshl_b64 s[0:1], s[0:1], 1
	s_waitcnt vmcnt(0)
	v_sub_nc_u32_sdwa v9, v4, v1 dst_sel:DWORD dst_unused:UNUSED_PAD src0_sel:WORD_1 src1_sel:WORD_1
	s_add_u32 s0, s8, s0
	s_addc_u32 s1, s9, s1
	v_sub_nc_u32_sdwa v15, v5, v2 dst_sel:DWORD dst_unused:UNUSED_PAD src0_sel:WORD_0 src1_sel:WORD_0
	global_load_ushort v13, v8, s[0:1]
	v_sub_nc_u32_sdwa v8, v5, v2 dst_sel:DWORD dst_unused:UNUSED_PAD src0_sel:WORD_1 src1_sel:WORD_1
	v_sub_nc_u32_sdwa v1, v4, v1 dst_sel:DWORD dst_unused:UNUSED_PAD src0_sel:WORD_0 src1_sel:WORD_0
	v_mov_b32_e32 v10, 0xffff
	v_mov_b32_e32 v16, 8
	ds_write_b16 v12, v7
	v_cmp_lt_i32_e64 s0, 5, v8
	s_waitcnt vmcnt(0) lgkmcnt(0)
	v_and_b32_sdwa v10, v10, v2 dst_sel:DWORD dst_unused:UNUSED_PAD src0_sel:DWORD src1_sel:WORD_1
	s_barrier
	buffer_gl0_inv
	v_cndmask_b32_e64 v14, 0, 1, s0
	v_cmp_lt_i32_e64 s0, 5, v9
	v_sub_nc_u32_sdwa v10, v10, v3 dst_sel:DWORD dst_unused:UNUSED_PAD src0_sel:DWORD src1_sel:WORD_0
	v_lshlrev_b16 v9, 8, v14
	v_cndmask_b32_e64 v8, 0, 1, s0
	v_cmp_lt_i32_e64 s0, 5, v15
	v_bfe_u32 v9, v9, 8, 1
	v_lshlrev_b16 v17, 8, v8
	v_cndmask_b32_e64 v15, 0, 1, s0
	v_cmp_lt_i32_e64 s0, 5, v1
	v_lshlrev_b16 v20, 8, v9
	v_lshrrev_b32_sdwa v17, v16, v17 dst_sel:BYTE_1 dst_unused:UNUSED_PAD src0_sel:DWORD src1_sel:DWORD
	v_lshlrev_b16 v18, 8, v15
	v_cndmask_b32_e64 v1, 0, 1, s0
	v_cmp_lt_i32_e64 s0, 5, v10
	v_or_b32_sdwa v15, v15, v20 dst_sel:WORD_1 dst_unused:UNUSED_PAD src0_sel:DWORD src1_sel:DWORD
	v_lshrrev_b32_sdwa v18, v16, v18 dst_sel:BYTE_1 dst_unused:UNUSED_PAD src0_sel:DWORD src1_sel:DWORD
	v_lshlrev_b16 v19, 8, v1
	v_or_b32_e32 v1, v1, v17
	v_cndmask_b32_e64 v10, 0, 1, s0
	v_cmp_lt_i32_e64 s0, 5, v11
	v_or_b32_sdwa v8, v8, v18 dst_sel:WORD_1 dst_unused:UNUSED_PAD src0_sel:DWORD src1_sel:DWORD
	v_lshrrev_b32_sdwa v19, v16, v19 dst_sel:BYTE_1 dst_unused:UNUSED_PAD src0_sel:DWORD src1_sel:DWORD
	v_or_b32_sdwa v1, v1, v15 dst_sel:DWORD dst_unused:UNUSED_PAD src0_sel:WORD_0 src1_sel:DWORD
	v_or_b32_e32 v17, 1, v19
	v_or_b32_sdwa v15, v17, v8 dst_sel:DWORD dst_unused:UNUSED_PAD src0_sel:WORD_0 src1_sel:DWORD
	v_cndmask_b32_e64 v8, 0, 1, s0
	s_and_saveexec_b32 s1, vcc_lo
	s_cbranch_execz .LBB55_18
; %bb.17:
	v_add_nc_u32_e32 v9, -2, v12
	v_lshlrev_b16 v17, 8, v10
	v_mov_b32_e32 v18, 24
	v_mov_b32_e32 v19, 0xff
	v_lshrrev_b32_sdwa v16, v16, v15 dst_sel:BYTE_1 dst_unused:UNUSED_PAD src0_sel:DWORD src1_sel:DWORD
	ds_read_u16 v9, v9
	v_or_b32_e32 v14, v14, v17
	v_lshrrev_b32_sdwa v17, v18, v15 dst_sel:BYTE_1 dst_unused:UNUSED_PAD src0_sel:DWORD src1_sel:DWORD
	v_and_b32_sdwa v15, v15, v19 dst_sel:DWORD dst_unused:UNUSED_PAD src0_sel:WORD_1 src1_sel:DWORD
	v_cndmask_b32_e64 v18, 0, 1, s0
	v_and_b32_e32 v14, 0xffff, v14
	v_or_b32_sdwa v15, v15, v17 dst_sel:WORD_1 dst_unused:UNUSED_PAD src0_sel:DWORD src1_sel:DWORD
	s_waitcnt lgkmcnt(0)
	v_sub_nc_u32_sdwa v9, v9, v4 dst_sel:DWORD dst_unused:UNUSED_PAD src0_sel:DWORD src1_sel:WORD_0
	v_cmp_lt_i32_e32 vcc_lo, 5, v9
	v_cndmask_b32_e64 v9, 0, 1, vcc_lo
	v_or_b32_e32 v16, v9, v16
	v_lshl_or_b32 v9, v18, 16, v14
	v_or_b32_sdwa v15, v16, v15 dst_sel:DWORD dst_unused:UNUSED_PAD src0_sel:WORD_0 src1_sel:DWORD
.LBB55_18:
	s_or_b32 exec_lo, exec_lo, s1
	s_mov_b32 s0, exec_lo
	ds_write_b16 v12, v4 offset:512
	s_waitcnt lgkmcnt(0)
	s_barrier
	buffer_gl0_inv
	v_cmpx_ne_u32_e32 0xff, v0
; %bb.19:
	ds_read_u16 v13, v12 offset:514
; %bb.20:
	s_or_b32 exec_lo, exec_lo, s0
	s_waitcnt lgkmcnt(0)
	v_sub_nc_u32_sdwa v13, v7, v13 dst_sel:DWORD dst_unused:UNUSED_PAD src0_sel:WORD_0 src1_sel:WORD_0
	v_perm_b32 v14, v1, v1, 0x3020104
	v_perm_b32 v15, v15, v15, 0x3020104
	v_cmp_lt_i32_e32 vcc_lo, 5, v13
	v_cndmask_b32_e64 v13, 0, 1, vcc_lo
	s_branch .LBB55_27
.LBB55_21:
                                        ; implicit-def: $vgpr9
                                        ; implicit-def: $vgpr15
                                        ; implicit-def: $vgpr13
                                        ; implicit-def: $vgpr8
                                        ; implicit-def: $vgpr10
                                        ; implicit-def: $vgpr14
	s_cbranch_execz .LBB55_27
; %bb.22:
	s_add_i32 s0, s12, -1
	s_mov_b32 s1, 0
	v_mov_b32_e32 v1, 0
	s_lshl_b64 s[4:5], s[0:1], 1
	s_add_u32 s4, s8, s4
	s_addc_u32 s5, s9, s5
	s_add_i32 s0, s12, 0x700
	s_lshl_b64 s[0:1], s[0:1], 1
	s_add_u32 s0, s8, s0
	s_addc_u32 s1, s9, s1
	s_clause 0x1
	global_load_ushort v9, v1, s[4:5]
	global_load_ushort v1, v1, s[0:1]
	s_mov_b32 s0, exec_lo
	ds_write_b16 v12, v7
	s_waitcnt vmcnt(0) lgkmcnt(0)
	s_barrier
	buffer_gl0_inv
	v_cmpx_ne_u32_e32 0, v0
; %bb.23:
	v_add_nc_u32_e32 v8, -2, v12
	ds_read_u16 v9, v8
; %bb.24:
	s_or_b32 exec_lo, exec_lo, s0
	s_mov_b32 s0, exec_lo
	ds_write_b16 v12, v4 offset:512
	s_waitcnt lgkmcnt(0)
	s_barrier
	buffer_gl0_inv
	v_cmpx_ne_u32_e32 0xff, v0
; %bb.25:
	ds_read_u16 v1, v12 offset:514
; %bb.26:
	s_or_b32 exec_lo, exec_lo, s0
	v_mov_b32_e32 v0, 0xffff
	v_cmp_lt_i32_e32 vcc_lo, 5, v11
	v_sub_nc_u32_sdwa v10, v4, v5 dst_sel:DWORD dst_unused:UNUSED_PAD src0_sel:WORD_1 src1_sel:WORD_0
	v_sub_nc_u32_sdwa v11, v4, v4 dst_sel:DWORD dst_unused:UNUSED_PAD src0_sel:WORD_0 src1_sel:WORD_1
	v_sub_nc_u32_sdwa v4, v9, v4 dst_sel:DWORD dst_unused:UNUSED_PAD src0_sel:WORD_0 src1_sel:WORD_0
	v_and_b32_sdwa v0, v0, v2 dst_sel:DWORD dst_unused:UNUSED_PAD src0_sel:DWORD src1_sel:WORD_1
	v_sub_nc_u32_sdwa v2, v5, v5 dst_sel:DWORD dst_unused:UNUSED_PAD src0_sel:WORD_0 src1_sel:WORD_1
	v_cndmask_b32_e64 v8, 0, 1, vcc_lo
	s_waitcnt lgkmcnt(0)
	v_sub_nc_u32_sdwa v1, v7, v1 dst_sel:DWORD dst_unused:UNUSED_PAD src0_sel:WORD_0 src1_sel:WORD_0
	v_sub_nc_u32_sdwa v5, v5, v0 dst_sel:DWORD dst_unused:UNUSED_PAD src0_sel:WORD_1 src1_sel:DWORD
	v_cmp_lt_i32_e32 vcc_lo, 5, v2
	v_sub_nc_u32_sdwa v0, v0, v3 dst_sel:DWORD dst_unused:UNUSED_PAD src0_sel:DWORD src1_sel:WORD_0
	v_cndmask_b32_e64 v2, 0, 1, vcc_lo
	v_cmp_lt_i32_e32 vcc_lo, 5, v10
	v_lshlrev_b16 v12, 8, v2
	v_cndmask_b32_e64 v10, 0, 1, vcc_lo
	v_cmp_lt_i32_e32 vcc_lo, 5, v5
	v_lshlrev_b16 v5, 8, v10
	;; [unrolled: 3-line block ×3, first 2 shown]
	v_cndmask_b32_e64 v3, 0, 1, vcc_lo
	v_cmp_lt_i32_e32 vcc_lo, 5, v4
	v_or_b32_sdwa v2, v2, v11 dst_sel:WORD_1 dst_unused:UNUSED_PAD src0_sel:DWORD src1_sel:DWORD
	v_lshlrev_b16 v13, 8, v3
	v_cndmask_b32_e64 v4, 0, 1, vcc_lo
	v_cmp_lt_i32_e32 vcc_lo, 5, v0
	v_or_b32_e32 v3, v3, v5
	v_or_b32_sdwa v5, v10, v12 dst_sel:WORD_1 dst_unused:UNUSED_PAD src0_sel:DWORD src1_sel:DWORD
	v_or_b32_e32 v4, v4, v13
	v_cndmask_b32_e64 v10, 0, 1, vcc_lo
	v_cmp_lt_i32_e32 vcc_lo, 5, v1
	v_or_b32_sdwa v14, v3, v2 dst_sel:DWORD dst_unused:UNUSED_PAD src0_sel:WORD_0 src1_sel:DWORD
	v_or_b32_sdwa v15, v4, v5 dst_sel:DWORD dst_unused:UNUSED_PAD src0_sel:WORD_0 src1_sel:DWORD
	v_cndmask_b32_e64 v13, 0, 1, vcc_lo
.LBB55_27:
	v_mov_b32_e32 v1, 0
	s_lshl_b64 s[0:1], s[12:13], 3
	v_lshlrev_b32_e32 v12, 3, v6
	v_and_b32_e32 v0, 0xff, v15
	v_bfe_u32 v2, v15, 8, 8
	v_mov_b32_e32 v3, v1
	s_add_u32 s4, s10, s0
	s_addc_u32 s5, s11, s1
	s_waitcnt vmcnt(0)
	v_and_b32_e32 v4, 0xff, v14
	v_bfe_u32 v6, v14, 8, 8
	global_store_dwordx4 v12, v[0:3], s[4:5]
	v_lshrrev_b32_e32 v2, 24, v15
	v_bfe_u32 v0, v15, 16, 8
	v_mov_b32_e32 v5, v1
	v_mov_b32_e32 v7, v1
	;; [unrolled: 1-line block ×3, first 2 shown]
	s_add_u32 s0, s2, s0
	global_store_dwordx4 v12, v[0:3], s[4:5] offset:16
	v_and_b32_e32 v0, 0xff, v9
	v_and_b32_e32 v2, 0xff, v10
	v_lshrrev_b32_e32 v10, 24, v14
	v_mov_b32_e32 v9, v1
	v_mov_b32_e32 v15, v1
	;; [unrolled: 1-line block ×3, first 2 shown]
	global_store_dwordx4 v12, v[0:3], s[4:5] offset:32
	v_and_b32_e32 v0, 0xff, v8
	v_bfe_u32 v8, v14, 16, 8
	v_mov_b32_e32 v14, v2
	s_addc_u32 s1, s3, s1
	v_mov_b32_e32 v16, v0
	global_store_dwordx2 v12, v[0:1], s[4:5] offset:48
	v_and_b32_e32 v0, 0xff, v13
	global_store_dwordx4 v12, v[4:7], s[0:1]
	global_store_dwordx4 v12, v[8:11], s[0:1] offset:16
	global_store_dwordx4 v12, v[14:17], s[0:1] offset:32
	global_store_dwordx2 v12, v[0:1], s[0:1] offset:48
	s_endpgm
	.section	.rodata,"a",@progbits
	.p2align	6, 0x0
	.amdhsa_kernel _Z27flag_heads_and_tails_kernelIth15custom_flag_op2ItELj256ELj7EEvPT_PxS4_
		.amdhsa_group_segment_fixed_size 1024
		.amdhsa_private_segment_fixed_size 0
		.amdhsa_kernarg_size 24
		.amdhsa_user_sgpr_count 6
		.amdhsa_user_sgpr_private_segment_buffer 1
		.amdhsa_user_sgpr_dispatch_ptr 0
		.amdhsa_user_sgpr_queue_ptr 0
		.amdhsa_user_sgpr_kernarg_segment_ptr 1
		.amdhsa_user_sgpr_dispatch_id 0
		.amdhsa_user_sgpr_flat_scratch_init 0
		.amdhsa_user_sgpr_private_segment_size 0
		.amdhsa_wavefront_size32 1
		.amdhsa_uses_dynamic_stack 0
		.amdhsa_system_sgpr_private_segment_wavefront_offset 0
		.amdhsa_system_sgpr_workgroup_id_x 1
		.amdhsa_system_sgpr_workgroup_id_y 0
		.amdhsa_system_sgpr_workgroup_id_z 0
		.amdhsa_system_sgpr_workgroup_info 0
		.amdhsa_system_vgpr_workitem_id 0
		.amdhsa_next_free_vgpr 21
		.amdhsa_next_free_sgpr 14
		.amdhsa_reserve_vcc 1
		.amdhsa_reserve_flat_scratch 0
		.amdhsa_float_round_mode_32 0
		.amdhsa_float_round_mode_16_64 0
		.amdhsa_float_denorm_mode_32 3
		.amdhsa_float_denorm_mode_16_64 3
		.amdhsa_dx10_clamp 1
		.amdhsa_ieee_mode 1
		.amdhsa_fp16_overflow 0
		.amdhsa_workgroup_processor_mode 1
		.amdhsa_memory_ordered 1
		.amdhsa_forward_progress 1
		.amdhsa_shared_vgpr_count 0
		.amdhsa_exception_fp_ieee_invalid_op 0
		.amdhsa_exception_fp_denorm_src 0
		.amdhsa_exception_fp_ieee_div_zero 0
		.amdhsa_exception_fp_ieee_overflow 0
		.amdhsa_exception_fp_ieee_underflow 0
		.amdhsa_exception_fp_ieee_inexact 0
		.amdhsa_exception_int_div_zero 0
	.end_amdhsa_kernel
	.section	.text._Z27flag_heads_and_tails_kernelIth15custom_flag_op2ItELj256ELj7EEvPT_PxS4_,"axG",@progbits,_Z27flag_heads_and_tails_kernelIth15custom_flag_op2ItELj256ELj7EEvPT_PxS4_,comdat
.Lfunc_end55:
	.size	_Z27flag_heads_and_tails_kernelIth15custom_flag_op2ItELj256ELj7EEvPT_PxS4_, .Lfunc_end55-_Z27flag_heads_and_tails_kernelIth15custom_flag_op2ItELj256ELj7EEvPT_PxS4_
                                        ; -- End function
	.set _Z27flag_heads_and_tails_kernelIth15custom_flag_op2ItELj256ELj7EEvPT_PxS4_.num_vgpr, 21
	.set _Z27flag_heads_and_tails_kernelIth15custom_flag_op2ItELj256ELj7EEvPT_PxS4_.num_agpr, 0
	.set _Z27flag_heads_and_tails_kernelIth15custom_flag_op2ItELj256ELj7EEvPT_PxS4_.numbered_sgpr, 14
	.set _Z27flag_heads_and_tails_kernelIth15custom_flag_op2ItELj256ELj7EEvPT_PxS4_.num_named_barrier, 0
	.set _Z27flag_heads_and_tails_kernelIth15custom_flag_op2ItELj256ELj7EEvPT_PxS4_.private_seg_size, 0
	.set _Z27flag_heads_and_tails_kernelIth15custom_flag_op2ItELj256ELj7EEvPT_PxS4_.uses_vcc, 1
	.set _Z27flag_heads_and_tails_kernelIth15custom_flag_op2ItELj256ELj7EEvPT_PxS4_.uses_flat_scratch, 0
	.set _Z27flag_heads_and_tails_kernelIth15custom_flag_op2ItELj256ELj7EEvPT_PxS4_.has_dyn_sized_stack, 0
	.set _Z27flag_heads_and_tails_kernelIth15custom_flag_op2ItELj256ELj7EEvPT_PxS4_.has_recursion, 0
	.set _Z27flag_heads_and_tails_kernelIth15custom_flag_op2ItELj256ELj7EEvPT_PxS4_.has_indirect_call, 0
	.section	.AMDGPU.csdata,"",@progbits
; Kernel info:
; codeLenInByte = 2244
; TotalNumSgprs: 16
; NumVgprs: 21
; ScratchSize: 0
; MemoryBound: 0
; FloatMode: 240
; IeeeMode: 1
; LDSByteSize: 1024 bytes/workgroup (compile time only)
; SGPRBlocks: 0
; VGPRBlocks: 2
; NumSGPRsForWavesPerEU: 16
; NumVGPRsForWavesPerEU: 21
; Occupancy: 16
; WaveLimiterHint : 0
; COMPUTE_PGM_RSRC2:SCRATCH_EN: 0
; COMPUTE_PGM_RSRC2:USER_SGPR: 6
; COMPUTE_PGM_RSRC2:TRAP_HANDLER: 0
; COMPUTE_PGM_RSRC2:TGID_X_EN: 1
; COMPUTE_PGM_RSRC2:TGID_Y_EN: 0
; COMPUTE_PGM_RSRC2:TGID_Z_EN: 0
; COMPUTE_PGM_RSRC2:TIDIG_COMP_CNT: 0
	.section	.text._Z27flag_heads_and_tails_kernelIisN10test_utils4lessELj128ELj4EEvPT_PxS4_,"axG",@progbits,_Z27flag_heads_and_tails_kernelIisN10test_utils4lessELj128ELj4EEvPT_PxS4_,comdat
	.protected	_Z27flag_heads_and_tails_kernelIisN10test_utils4lessELj128ELj4EEvPT_PxS4_ ; -- Begin function _Z27flag_heads_and_tails_kernelIisN10test_utils4lessELj128ELj4EEvPT_PxS4_
	.globl	_Z27flag_heads_and_tails_kernelIisN10test_utils4lessELj128ELj4EEvPT_PxS4_
	.p2align	8
	.type	_Z27flag_heads_and_tails_kernelIisN10test_utils4lessELj128ELj4EEvPT_PxS4_,@function
_Z27flag_heads_and_tails_kernelIisN10test_utils4lessELj128ELj4EEvPT_PxS4_: ; @_Z27flag_heads_and_tails_kernelIisN10test_utils4lessELj128ELj4EEvPT_PxS4_
; %bb.0:
	s_load_dwordx4 s[8:11], s[4:5], 0x0
	s_lshl_b32 s12, s6, 9
	s_mov_b32 s13, 0
	v_lshlrev_b32_e32 v4, 4, v0
	s_lshl_b64 s[0:1], s[12:13], 2
	s_load_dwordx2 s[4:5], s[4:5], 0x10
	v_lshlrev_b32_e32 v6, 2, v0
	s_waitcnt lgkmcnt(0)
	s_add_u32 s0, s8, s0
	s_addc_u32 s1, s9, s1
	s_and_b32 s2, s6, 3
	s_clause 0x1
	global_load_dwordx3 v[1:3], v4, s[0:1]
	global_load_dwordx2 v[4:5], v4, s[0:1] offset:8
	s_cmp_lt_i32 s2, 2
	s_cbranch_scc1 .LBB56_8
; %bb.1:
	s_cmp_gt_i32 s2, 2
	s_cbranch_scc0 .LBB56_9
; %bb.2:
	s_waitcnt vmcnt(0)
	v_cmp_lt_i32_e32 vcc_lo, v3, v5
	s_mov_b32 s0, exec_lo
	ds_write_b32 v6, v5
	s_waitcnt lgkmcnt(0)
	s_barrier
	v_cndmask_b32_e64 v9, 0, 1, vcc_lo
	v_cmp_lt_i32_e32 vcc_lo, v1, v2
	buffer_gl0_inv
	v_cndmask_b32_e64 v10, 0, 1, vcc_lo
	v_cmp_lt_i32_e32 vcc_lo, v2, v3
	v_perm_b32 v8, v10, 1, 0x5040100
	v_cndmask_b32_e64 v11, 0, 1, vcc_lo
	v_perm_b32 v7, v9, v11, 0x5040100
	v_cmpx_ne_u32_e32 0, v0
	s_cbranch_execz .LBB56_4
; %bb.3:
	v_add_nc_u32_e32 v12, -4, v6
	ds_read_b32 v12, v12
	s_waitcnt lgkmcnt(0)
	v_cmp_lt_i32_e32 vcc_lo, v12, v1
	v_cndmask_b32_e64 v12, 0, 1, vcc_lo
	v_bfi_b32 v8, 0xffff, v12, v8
.LBB56_4:
	s_or_b32 exec_lo, exec_lo, s0
	v_perm_b32 v10, v11, v10, 0x5040100
	v_perm_b32 v9, 1, v9, 0x5040100
	s_mov_b32 s0, exec_lo
	ds_write_b32 v6, v1 offset:512
	s_waitcnt lgkmcnt(0)
	s_barrier
	buffer_gl0_inv
	v_cmpx_ne_u32_e32 0x7f, v0
	s_cbranch_execz .LBB56_6
; %bb.5:
	ds_read_b32 v11, v6 offset:516
	s_waitcnt lgkmcnt(0)
	v_cmp_lt_i32_e32 vcc_lo, v5, v11
	v_cndmask_b32_e64 v11, 0, 1, vcc_lo
	v_perm_b32 v9, v11, v9, 0x5040100
.LBB56_6:
	s_or_b32 exec_lo, exec_lo, s0
.LBB56_7:
	s_cbranch_execz .LBB56_15
	s_branch .LBB56_27
.LBB56_8:
                                        ; implicit-def: $vgpr7
                                        ; implicit-def: $vgpr8
                                        ; implicit-def: $vgpr9
                                        ; implicit-def: $vgpr10
	s_branch .LBB56_15
.LBB56_9:
                                        ; implicit-def: $vgpr7
                                        ; implicit-def: $vgpr8
                                        ; implicit-def: $vgpr9
                                        ; implicit-def: $vgpr10
	s_cbranch_execz .LBB56_7
; %bb.10:
	s_add_i32 s0, s12, -1
	s_mov_b32 s1, 0
	s_waitcnt vmcnt(0)
	ds_write_b32 v6, v5
	s_lshl_b64 s[0:1], s[0:1], 2
	s_add_u32 s0, s8, s0
	s_addc_u32 s1, s9, s1
	s_load_dword s0, s[0:1], 0x0
	s_waitcnt lgkmcnt(0)
	s_barrier
	buffer_gl0_inv
	v_mov_b32_e32 v9, s0
	s_mov_b32 s0, exec_lo
	v_cmpx_ne_u32_e32 0, v0
; %bb.11:
	v_add_nc_u32_e32 v7, -4, v6
	ds_read_b32 v9, v7
; %bb.12:
	s_or_b32 exec_lo, exec_lo, s0
	v_cmp_lt_i32_e32 vcc_lo, v2, v3
	s_mov_b32 s0, exec_lo
	ds_write_b32 v6, v1 offset:512
	s_waitcnt lgkmcnt(0)
	s_barrier
	v_cndmask_b32_e64 v7, 0, 1, vcc_lo
	v_cmp_lt_i32_e32 vcc_lo, v1, v2
	buffer_gl0_inv
	v_cndmask_b32_e64 v8, 0, 1, vcc_lo
	v_cmp_lt_i32_e32 vcc_lo, v3, v5
	v_perm_b32 v10, v7, v8, 0x5040100
	v_cndmask_b32_e64 v11, 0, 1, vcc_lo
	v_cmp_lt_i32_e32 vcc_lo, v9, v1
	v_perm_b32 v9, 1, v11, 0x5040100
	v_cndmask_b32_e64 v12, 0, 1, vcc_lo
	v_cmpx_ne_u32_e32 0x7f, v0
	s_cbranch_execz .LBB56_14
; %bb.13:
	ds_read_b32 v13, v6 offset:516
	s_waitcnt lgkmcnt(0)
	v_cmp_lt_i32_e32 vcc_lo, v5, v13
	v_cndmask_b32_e64 v13, 0, 1, vcc_lo
	v_perm_b32 v9, v13, v9, 0x5040100
.LBB56_14:
	s_or_b32 exec_lo, exec_lo, s0
	v_perm_b32 v8, v8, v12, 0x5040100
	v_perm_b32 v7, v11, v7, 0x5040100
	s_cbranch_execnz .LBB56_27
.LBB56_15:
	s_waitcnt vmcnt(0)
	v_cmp_lt_i32_e64 s1, v3, v5
	v_cmp_lt_i32_e64 s0, v1, v2
	s_cmp_eq_u32 s2, 1
	v_cmp_ne_u32_e32 vcc_lo, 0, v0
	s_cbranch_scc1 .LBB56_21
; %bb.16:
	s_add_i32 s2, s12, 0x200
	s_mov_b32 s3, 0
	v_cndmask_b32_e64 v8, 0, 1, s1
	s_lshl_b64 s[2:3], s[2:3], 2
	ds_write_b32 v6, v5
	s_add_u32 s2, s8, s2
	s_addc_u32 s3, s9, s3
	s_load_dword s3, s[2:3], 0x0
	v_cmp_lt_i32_e64 s2, v2, v4
	v_cndmask_b32_e64 v4, 0, 1, s0
	s_waitcnt lgkmcnt(0)
	s_barrier
	buffer_gl0_inv
	v_cndmask_b32_e64 v7, 0, 1, s2
	v_perm_b32 v7, v8, v7, 0x5040100
	v_perm_b32 v8, v4, 1, 0x5040100
	s_and_saveexec_b32 s0, vcc_lo
	s_cbranch_execz .LBB56_18
; %bb.17:
	v_add_nc_u32_e32 v9, -4, v6
	ds_read_b32 v9, v9
	s_waitcnt lgkmcnt(0)
	v_cmp_lt_i32_e32 vcc_lo, v9, v1
	v_cndmask_b32_e64 v9, 0, 1, vcc_lo
	v_bfi_b32 v8, 0xffff, v9, v8
.LBB56_18:
	s_or_b32 exec_lo, exec_lo, s0
	v_mov_b32_e32 v9, s3
	s_mov_b32 s0, exec_lo
	ds_write_b32 v6, v1 offset:512
	s_waitcnt lgkmcnt(0)
	s_barrier
	buffer_gl0_inv
	v_cmpx_ne_u32_e32 0x7f, v0
; %bb.19:
	ds_read_b32 v9, v6 offset:516
; %bb.20:
	s_or_b32 exec_lo, exec_lo, s0
	s_waitcnt lgkmcnt(0)
	v_cmp_lt_i32_e32 vcc_lo, v5, v9
	v_perm_b32 v10, v7, v4, 0x5040100
	v_cndmask_b32_e64 v9, 0, 1, vcc_lo
	v_alignbit_b32 v9, v9, v7, 16
	s_branch .LBB56_27
.LBB56_21:
                                        ; implicit-def: $vgpr7
                                        ; implicit-def: $vgpr8
                                        ; implicit-def: $vgpr9
                                        ; implicit-def: $vgpr10
	s_cbranch_execz .LBB56_27
; %bb.22:
	s_add_i32 s0, s12, -1
	s_mov_b32 s1, 0
	ds_write_b32 v6, v5
	s_lshl_b64 s[2:3], s[0:1], 2
	s_add_u32 s2, s8, s2
	s_addc_u32 s3, s9, s3
	s_add_i32 s0, s12, 0x200
	s_load_dword s2, s[2:3], 0x0
	s_lshl_b64 s[0:1], s[0:1], 2
	s_add_u32 s0, s8, s0
	s_addc_u32 s1, s9, s1
	s_load_dword s0, s[0:1], 0x0
	s_mov_b32 s1, exec_lo
	s_waitcnt lgkmcnt(0)
	s_barrier
	buffer_gl0_inv
	v_mov_b32_e32 v4, s2
	v_cmpx_ne_u32_e32 0, v0
; %bb.23:
	v_add_nc_u32_e32 v4, -4, v6
	ds_read_b32 v4, v4
; %bb.24:
	s_or_b32 exec_lo, exec_lo, s1
	v_cmp_ne_u32_e32 vcc_lo, 0x7f, v0
	v_mov_b32_e32 v0, s0
	ds_write_b32 v6, v1 offset:512
	s_waitcnt lgkmcnt(0)
	s_barrier
	buffer_gl0_inv
	s_and_saveexec_b32 s0, vcc_lo
; %bb.25:
	ds_read_b32 v0, v6 offset:516
; %bb.26:
	s_or_b32 exec_lo, exec_lo, s0
	v_cmp_lt_i32_e32 vcc_lo, v3, v5
	v_cndmask_b32_e64 v7, 0, 1, vcc_lo
	v_cmp_lt_i32_e32 vcc_lo, v2, v3
	v_cndmask_b32_e64 v3, 0, 1, vcc_lo
	;; [unrolled: 2-line block ×3, first 2 shown]
	s_waitcnt lgkmcnt(0)
	v_cmp_lt_i32_e32 vcc_lo, v5, v0
	v_perm_b32 v10, v3, v2, 0x5040100
	v_cndmask_b32_e64 v0, 0, 1, vcc_lo
	v_cmp_lt_i32_e32 vcc_lo, v4, v1
	v_perm_b32 v9, v0, v7, 0x5040100
	v_cndmask_b32_e64 v1, 0, 1, vcc_lo
	v_perm_b32 v7, v7, v3, 0x5040100
	v_perm_b32 v8, v2, v1, 0x5040100
.LBB56_27:
	s_waitcnt vmcnt(1)
	v_lshrrev_b32_e32 v1, 16, v8
	v_bfe_i32 v0, v8, 0, 16
	v_lshlrev_b32_e32 v12, 3, v6
	v_lshrrev_b32_e32 v6, 16, v7
	s_lshl_b64 s[0:1], s[12:13], 3
	v_bfe_i32 v2, v1, 0, 16
	s_waitcnt vmcnt(0)
	v_bfe_i32 v4, v7, 0, 16
	v_lshrrev_b32_e32 v7, 16, v10
	v_ashrrev_i32_e32 v1, 31, v0
	v_lshrrev_b32_e32 v11, 16, v9
	v_ashrrev_i32_e32 v3, 31, v2
	s_add_u32 s2, s10, s0
	s_addc_u32 s3, s11, s1
	v_bfe_i32 v6, v6, 0, 16
	v_bfe_i32 v8, v9, 0, 16
	global_store_dwordx4 v12, v[0:3], s[2:3]
	v_bfe_i32 v0, v10, 0, 16
	v_bfe_i32 v2, v7, 0, 16
	v_bfe_i32 v10, v11, 0, 16
	v_ashrrev_i32_e32 v5, 31, v4
	v_ashrrev_i32_e32 v7, 31, v6
	v_ashrrev_i32_e32 v1, 31, v0
	v_ashrrev_i32_e32 v3, 31, v2
	v_ashrrev_i32_e32 v9, 31, v8
	v_ashrrev_i32_e32 v11, 31, v10
	s_add_u32 s0, s4, s0
	s_addc_u32 s1, s5, s1
	global_store_dwordx4 v12, v[4:7], s[2:3] offset:16
	global_store_dwordx4 v12, v[0:3], s[0:1]
	global_store_dwordx4 v12, v[8:11], s[0:1] offset:16
	s_endpgm
	.section	.rodata,"a",@progbits
	.p2align	6, 0x0
	.amdhsa_kernel _Z27flag_heads_and_tails_kernelIisN10test_utils4lessELj128ELj4EEvPT_PxS4_
		.amdhsa_group_segment_fixed_size 1024
		.amdhsa_private_segment_fixed_size 0
		.amdhsa_kernarg_size 24
		.amdhsa_user_sgpr_count 6
		.amdhsa_user_sgpr_private_segment_buffer 1
		.amdhsa_user_sgpr_dispatch_ptr 0
		.amdhsa_user_sgpr_queue_ptr 0
		.amdhsa_user_sgpr_kernarg_segment_ptr 1
		.amdhsa_user_sgpr_dispatch_id 0
		.amdhsa_user_sgpr_flat_scratch_init 0
		.amdhsa_user_sgpr_private_segment_size 0
		.amdhsa_wavefront_size32 1
		.amdhsa_uses_dynamic_stack 0
		.amdhsa_system_sgpr_private_segment_wavefront_offset 0
		.amdhsa_system_sgpr_workgroup_id_x 1
		.amdhsa_system_sgpr_workgroup_id_y 0
		.amdhsa_system_sgpr_workgroup_id_z 0
		.amdhsa_system_sgpr_workgroup_info 0
		.amdhsa_system_vgpr_workitem_id 0
		.amdhsa_next_free_vgpr 14
		.amdhsa_next_free_sgpr 14
		.amdhsa_reserve_vcc 1
		.amdhsa_reserve_flat_scratch 0
		.amdhsa_float_round_mode_32 0
		.amdhsa_float_round_mode_16_64 0
		.amdhsa_float_denorm_mode_32 3
		.amdhsa_float_denorm_mode_16_64 3
		.amdhsa_dx10_clamp 1
		.amdhsa_ieee_mode 1
		.amdhsa_fp16_overflow 0
		.amdhsa_workgroup_processor_mode 1
		.amdhsa_memory_ordered 1
		.amdhsa_forward_progress 1
		.amdhsa_shared_vgpr_count 0
		.amdhsa_exception_fp_ieee_invalid_op 0
		.amdhsa_exception_fp_denorm_src 0
		.amdhsa_exception_fp_ieee_div_zero 0
		.amdhsa_exception_fp_ieee_overflow 0
		.amdhsa_exception_fp_ieee_underflow 0
		.amdhsa_exception_fp_ieee_inexact 0
		.amdhsa_exception_int_div_zero 0
	.end_amdhsa_kernel
	.section	.text._Z27flag_heads_and_tails_kernelIisN10test_utils4lessELj128ELj4EEvPT_PxS4_,"axG",@progbits,_Z27flag_heads_and_tails_kernelIisN10test_utils4lessELj128ELj4EEvPT_PxS4_,comdat
.Lfunc_end56:
	.size	_Z27flag_heads_and_tails_kernelIisN10test_utils4lessELj128ELj4EEvPT_PxS4_, .Lfunc_end56-_Z27flag_heads_and_tails_kernelIisN10test_utils4lessELj128ELj4EEvPT_PxS4_
                                        ; -- End function
	.set _Z27flag_heads_and_tails_kernelIisN10test_utils4lessELj128ELj4EEvPT_PxS4_.num_vgpr, 14
	.set _Z27flag_heads_and_tails_kernelIisN10test_utils4lessELj128ELj4EEvPT_PxS4_.num_agpr, 0
	.set _Z27flag_heads_and_tails_kernelIisN10test_utils4lessELj128ELj4EEvPT_PxS4_.numbered_sgpr, 14
	.set _Z27flag_heads_and_tails_kernelIisN10test_utils4lessELj128ELj4EEvPT_PxS4_.num_named_barrier, 0
	.set _Z27flag_heads_and_tails_kernelIisN10test_utils4lessELj128ELj4EEvPT_PxS4_.private_seg_size, 0
	.set _Z27flag_heads_and_tails_kernelIisN10test_utils4lessELj128ELj4EEvPT_PxS4_.uses_vcc, 1
	.set _Z27flag_heads_and_tails_kernelIisN10test_utils4lessELj128ELj4EEvPT_PxS4_.uses_flat_scratch, 0
	.set _Z27flag_heads_and_tails_kernelIisN10test_utils4lessELj128ELj4EEvPT_PxS4_.has_dyn_sized_stack, 0
	.set _Z27flag_heads_and_tails_kernelIisN10test_utils4lessELj128ELj4EEvPT_PxS4_.has_recursion, 0
	.set _Z27flag_heads_and_tails_kernelIisN10test_utils4lessELj128ELj4EEvPT_PxS4_.has_indirect_call, 0
	.section	.AMDGPU.csdata,"",@progbits
; Kernel info:
; codeLenInByte = 1360
; TotalNumSgprs: 16
; NumVgprs: 14
; ScratchSize: 0
; MemoryBound: 0
; FloatMode: 240
; IeeeMode: 1
; LDSByteSize: 1024 bytes/workgroup (compile time only)
; SGPRBlocks: 0
; VGPRBlocks: 1
; NumSGPRsForWavesPerEU: 16
; NumVGPRsForWavesPerEU: 14
; Occupancy: 16
; WaveLimiterHint : 0
; COMPUTE_PGM_RSRC2:SCRATCH_EN: 0
; COMPUTE_PGM_RSRC2:USER_SGPR: 6
; COMPUTE_PGM_RSRC2:TRAP_HANDLER: 0
; COMPUTE_PGM_RSRC2:TGID_X_EN: 1
; COMPUTE_PGM_RSRC2:TGID_Y_EN: 0
; COMPUTE_PGM_RSRC2:TGID_Z_EN: 0
; COMPUTE_PGM_RSRC2:TIDIG_COMP_CNT: 0
	.section	.text._Z27flag_heads_and_tails_kernelIic15custom_flag_op2IiELj64ELj2EEvPT_PxS4_,"axG",@progbits,_Z27flag_heads_and_tails_kernelIic15custom_flag_op2IiELj64ELj2EEvPT_PxS4_,comdat
	.protected	_Z27flag_heads_and_tails_kernelIic15custom_flag_op2IiELj64ELj2EEvPT_PxS4_ ; -- Begin function _Z27flag_heads_and_tails_kernelIic15custom_flag_op2IiELj64ELj2EEvPT_PxS4_
	.globl	_Z27flag_heads_and_tails_kernelIic15custom_flag_op2IiELj64ELj2EEvPT_PxS4_
	.p2align	8
	.type	_Z27flag_heads_and_tails_kernelIic15custom_flag_op2IiELj64ELj2EEvPT_PxS4_,@function
_Z27flag_heads_and_tails_kernelIic15custom_flag_op2IiELj64ELj2EEvPT_PxS4_: ; @_Z27flag_heads_and_tails_kernelIic15custom_flag_op2IiELj64ELj2EEvPT_PxS4_
; %bb.0:
	s_clause 0x1
	s_load_dwordx4 s[8:11], s[4:5], 0x0
	s_load_dwordx2 s[2:3], s[4:5], 0x10
	s_lshl_b32 s12, s6, 7
	s_mov_b32 s13, 0
	v_lshlrev_b32_e32 v1, 3, v0
	s_lshl_b64 s[0:1], s[12:13], 2
	v_lshlrev_b32_e32 v3, 1, v0
	s_waitcnt lgkmcnt(0)
	s_add_u32 s0, s8, s0
	s_addc_u32 s1, s9, s1
	global_load_dwordx2 v[1:2], v1, s[0:1]
	s_and_b32 s1, s6, 3
	s_cmp_lt_i32 s1, 2
	s_cbranch_scc1 .LBB57_8
; %bb.1:
	s_cmp_gt_i32 s1, 2
	s_cbranch_scc0 .LBB57_9
; %bb.2:
	s_waitcnt vmcnt(0)
	v_sub_nc_u32_e32 v4, v1, v2
	v_lshlrev_b32_e32 v5, 2, v0
	s_mov_b32 s0, exec_lo
	v_cmp_lt_i32_e32 vcc_lo, 5, v4
	ds_write_b32 v5, v2
	s_waitcnt lgkmcnt(0)
	s_barrier
	buffer_gl0_inv
	v_cndmask_b32_e64 v6, 0, 1, vcc_lo
	v_lshlrev_b16 v4, 8, v6
	v_or_b32_e32 v4, 1, v4
	v_and_b32_e32 v4, 0xffff, v4
	v_cmpx_ne_u32_e32 0, v0
	s_cbranch_execz .LBB57_4
; %bb.3:
	v_add_nc_u32_e32 v7, -4, v5
	v_and_b32_e32 v4, 0x100, v4
	ds_read_b32 v7, v7
	s_waitcnt lgkmcnt(0)
	v_sub_nc_u32_e32 v7, v7, v1
	v_cmp_lt_i32_e32 vcc_lo, 5, v7
	v_cndmask_b32_e64 v7, 0, 1, vcc_lo
	v_or_b32_e32 v4, v7, v4
	v_and_b32_e32 v4, 0xffff, v4
.LBB57_4:
	s_or_b32 exec_lo, exec_lo, s0
	v_or_b32_e32 v6, 0x100, v6
	s_mov_b32 s0, exec_lo
	ds_write_b32 v5, v1 offset:256
	s_waitcnt lgkmcnt(0)
	s_barrier
	v_and_b32_e32 v7, 0xffff, v6
	buffer_gl0_inv
	v_cmpx_ne_u32_e32 63, v0
	s_cbranch_execz .LBB57_6
; %bb.5:
	ds_read_b32 v5, v5 offset:260
	s_waitcnt lgkmcnt(0)
	v_sub_nc_u32_e32 v5, v2, v5
	v_cmp_lt_i32_e32 vcc_lo, 5, v5
	v_cndmask_b32_e64 v5, 0, 1, vcc_lo
	v_lshlrev_b16 v5, 8, v5
	v_or_b32_sdwa v5, v7, v5 dst_sel:DWORD dst_unused:UNUSED_PAD src0_sel:BYTE_0 src1_sel:DWORD
	v_and_b32_e32 v7, 0xffff, v5
.LBB57_6:
	s_or_b32 exec_lo, exec_lo, s0
.LBB57_7:
	s_cbranch_execz .LBB57_15
	s_branch .LBB57_27
.LBB57_8:
                                        ; implicit-def: $vgpr4
                                        ; implicit-def: $vgpr7
	s_branch .LBB57_15
.LBB57_9:
                                        ; implicit-def: $vgpr4
                                        ; implicit-def: $vgpr7
	s_cbranch_execz .LBB57_7
; %bb.10:
	s_add_i32 s4, s12, -1
	s_mov_b32 s5, 0
	v_lshlrev_b32_e32 v4, 2, v0
	s_lshl_b64 s[4:5], s[4:5], 2
	s_add_u32 s4, s8, s4
	s_addc_u32 s5, s9, s5
	s_waitcnt vmcnt(0)
	ds_write_b32 v4, v2
	s_load_dword s0, s[4:5], 0x0
	s_waitcnt lgkmcnt(0)
	s_barrier
	buffer_gl0_inv
	v_mov_b32_e32 v5, s0
	s_mov_b32 s0, exec_lo
	v_cmpx_ne_u32_e32 0, v0
; %bb.11:
	v_add_nc_u32_e32 v5, -4, v4
	ds_read_b32 v5, v5
; %bb.12:
	s_or_b32 exec_lo, exec_lo, s0
	v_sub_nc_u32_e32 v6, v1, v2
	s_waitcnt lgkmcnt(0)
	v_sub_nc_u32_e32 v5, v5, v1
	s_mov_b32 s0, exec_lo
	ds_write_b32 v4, v1 offset:256
	s_waitcnt lgkmcnt(0)
	v_cmp_lt_i32_e32 vcc_lo, 5, v6
	s_barrier
	buffer_gl0_inv
	v_cndmask_b32_e64 v6, 0, 1, vcc_lo
	v_cmp_lt_i32_e32 vcc_lo, 5, v5
	v_lshlrev_b16 v7, 8, v6
	v_cndmask_b32_e64 v5, 0, 1, vcc_lo
	v_or_b32_e32 v6, 0x100, v6
	v_or_b32_e32 v5, v5, v7
	v_and_b32_e32 v7, 0xffff, v6
	v_cmpx_ne_u32_e32 63, v0
	s_cbranch_execz .LBB57_14
; %bb.13:
	ds_read_b32 v4, v4 offset:260
	s_waitcnt lgkmcnt(0)
	v_sub_nc_u32_e32 v4, v2, v4
	v_cmp_lt_i32_e32 vcc_lo, 5, v4
	v_cndmask_b32_e64 v4, 0, 1, vcc_lo
	v_lshlrev_b16 v4, 8, v4
	v_or_b32_sdwa v4, v7, v4 dst_sel:DWORD dst_unused:UNUSED_PAD src0_sel:BYTE_0 src1_sel:DWORD
	v_and_b32_e32 v7, 0xffff, v4
.LBB57_14:
	s_or_b32 exec_lo, exec_lo, s0
	v_and_b32_e32 v4, 0xffff, v5
	s_cbranch_execnz .LBB57_27
.LBB57_15:
	s_waitcnt vmcnt(0)
	v_sub_nc_u32_e32 v5, v1, v2
	v_lshlrev_b32_e32 v6, 2, v0
	s_cmp_eq_u32 s1, 1
	v_cmp_ne_u32_e32 vcc_lo, 0, v0
	v_cmp_lt_i32_e64 s0, 5, v5
	s_cbranch_scc1 .LBB57_21
; %bb.16:
	s_add_i32 s4, s12, 0x80
	s_mov_b32 s5, 0
	v_cndmask_b32_e64 v7, 0, 1, s0
	s_lshl_b64 s[4:5], s[4:5], 2
	ds_write_b32 v6, v2
	s_add_u32 s4, s8, s4
	s_addc_u32 s5, s9, s5
	v_lshlrev_b16 v4, 8, v7
	s_load_dword s1, s[4:5], 0x0
	s_waitcnt lgkmcnt(0)
	s_barrier
	buffer_gl0_inv
	v_or_b32_e32 v4, 1, v4
	v_and_b32_e32 v4, 0xffff, v4
	s_and_saveexec_b32 s0, vcc_lo
	s_cbranch_execz .LBB57_18
; %bb.17:
	v_add_nc_u32_e32 v8, -4, v6
	v_and_b32_e32 v4, 0x100, v4
	ds_read_b32 v8, v8
	s_waitcnt lgkmcnt(0)
	v_sub_nc_u32_e32 v8, v8, v1
	v_cmp_lt_i32_e32 vcc_lo, 5, v8
	v_cndmask_b32_e64 v8, 0, 1, vcc_lo
	v_or_b32_e32 v4, v8, v4
	v_and_b32_e32 v4, 0xffff, v4
.LBB57_18:
	s_or_b32 exec_lo, exec_lo, s0
	v_mov_b32_e32 v8, s1
	s_mov_b32 s0, exec_lo
	ds_write_b32 v6, v1 offset:256
	s_waitcnt lgkmcnt(0)
	s_barrier
	buffer_gl0_inv
	v_cmpx_ne_u32_e32 63, v0
; %bb.19:
	ds_read_b32 v8, v6 offset:260
; %bb.20:
	s_or_b32 exec_lo, exec_lo, s0
	s_waitcnt lgkmcnt(0)
	v_sub_nc_u32_e32 v8, v2, v8
	v_cmp_lt_i32_e32 vcc_lo, 5, v8
	v_cndmask_b32_e64 v8, 0, 1, vcc_lo
	v_lshlrev_b16 v8, 8, v8
	v_or_b32_e32 v7, v7, v8
	v_and_b32_e32 v7, 0xffff, v7
	s_branch .LBB57_27
.LBB57_21:
                                        ; implicit-def: $vgpr4
                                        ; implicit-def: $vgpr7
	s_cbranch_execz .LBB57_27
; %bb.22:
	s_add_i32 s0, s12, -1
	s_mov_b32 s1, 0
	ds_write_b32 v6, v2
	s_lshl_b64 s[4:5], s[0:1], 2
	s_add_u32 s4, s8, s4
	s_addc_u32 s5, s9, s5
	s_add_i32 s0, s12, 0x80
	s_load_dword s4, s[4:5], 0x0
	s_lshl_b64 s[0:1], s[0:1], 2
	s_add_u32 s0, s8, s0
	s_addc_u32 s1, s9, s1
	s_load_dword s0, s[0:1], 0x0
	s_mov_b32 s1, exec_lo
	s_waitcnt lgkmcnt(0)
	s_barrier
	buffer_gl0_inv
	v_mov_b32_e32 v4, s4
	v_cmpx_ne_u32_e32 0, v0
; %bb.23:
	v_add_nc_u32_e32 v4, -4, v6
	ds_read_b32 v4, v4
; %bb.24:
	s_or_b32 exec_lo, exec_lo, s1
	v_cmp_ne_u32_e32 vcc_lo, 63, v0
	v_mov_b32_e32 v0, s0
	ds_write_b32 v6, v1 offset:256
	s_waitcnt lgkmcnt(0)
	s_barrier
	buffer_gl0_inv
	s_and_saveexec_b32 s0, vcc_lo
; %bb.25:
	ds_read_b32 v0, v6 offset:260
; %bb.26:
	s_or_b32 exec_lo, exec_lo, s0
	s_waitcnt lgkmcnt(0)
	v_sub_nc_u32_e32 v0, v2, v0
	v_cmp_lt_i32_e32 vcc_lo, 5, v5
	v_sub_nc_u32_e32 v1, v4, v1
	v_cndmask_b32_e64 v2, 0, 1, vcc_lo
	v_cmp_lt_i32_e32 vcc_lo, 5, v0
	v_lshlrev_b16 v4, 8, v2
	v_cndmask_b32_e64 v0, 0, 1, vcc_lo
	v_cmp_lt_i32_e32 vcc_lo, 5, v1
	v_lshlrev_b16 v0, 8, v0
	v_cndmask_b32_e64 v1, 0, 1, vcc_lo
	v_or_b32_e32 v0, v2, v0
	v_or_b32_e32 v1, v1, v4
	v_and_b32_e32 v7, 0xffff, v0
	v_and_b32_e32 v4, 0xffff, v1
.LBB57_27:
	s_waitcnt vmcnt(0)
	v_lshrrev_b16 v1, 8, v4
	v_lshrrev_b16 v5, 8, v7
	v_bfe_i32 v0, v4, 0, 8
	v_bfe_i32 v4, v7, 0, 8
	s_lshl_b64 s[0:1], s[12:13], 3
	v_bfe_i32 v2, v1, 0, 8
	v_bfe_i32 v6, v5, 0, 8
	v_lshlrev_b32_e32 v8, 3, v3
	v_ashrrev_i32_e32 v1, 31, v0
	s_add_u32 s4, s10, s0
	v_ashrrev_i32_e32 v3, 31, v2
	v_ashrrev_i32_e32 v5, 31, v4
	v_ashrrev_i32_e32 v7, 31, v6
	s_addc_u32 s5, s11, s1
	s_add_u32 s0, s2, s0
	s_addc_u32 s1, s3, s1
	global_store_dwordx4 v8, v[0:3], s[4:5]
	global_store_dwordx4 v8, v[4:7], s[0:1]
	s_endpgm
	.section	.rodata,"a",@progbits
	.p2align	6, 0x0
	.amdhsa_kernel _Z27flag_heads_and_tails_kernelIic15custom_flag_op2IiELj64ELj2EEvPT_PxS4_
		.amdhsa_group_segment_fixed_size 512
		.amdhsa_private_segment_fixed_size 0
		.amdhsa_kernarg_size 24
		.amdhsa_user_sgpr_count 6
		.amdhsa_user_sgpr_private_segment_buffer 1
		.amdhsa_user_sgpr_dispatch_ptr 0
		.amdhsa_user_sgpr_queue_ptr 0
		.amdhsa_user_sgpr_kernarg_segment_ptr 1
		.amdhsa_user_sgpr_dispatch_id 0
		.amdhsa_user_sgpr_flat_scratch_init 0
		.amdhsa_user_sgpr_private_segment_size 0
		.amdhsa_wavefront_size32 1
		.amdhsa_uses_dynamic_stack 0
		.amdhsa_system_sgpr_private_segment_wavefront_offset 0
		.amdhsa_system_sgpr_workgroup_id_x 1
		.amdhsa_system_sgpr_workgroup_id_y 0
		.amdhsa_system_sgpr_workgroup_id_z 0
		.amdhsa_system_sgpr_workgroup_info 0
		.amdhsa_system_vgpr_workitem_id 0
		.amdhsa_next_free_vgpr 9
		.amdhsa_next_free_sgpr 14
		.amdhsa_reserve_vcc 1
		.amdhsa_reserve_flat_scratch 0
		.amdhsa_float_round_mode_32 0
		.amdhsa_float_round_mode_16_64 0
		.amdhsa_float_denorm_mode_32 3
		.amdhsa_float_denorm_mode_16_64 3
		.amdhsa_dx10_clamp 1
		.amdhsa_ieee_mode 1
		.amdhsa_fp16_overflow 0
		.amdhsa_workgroup_processor_mode 1
		.amdhsa_memory_ordered 1
		.amdhsa_forward_progress 1
		.amdhsa_shared_vgpr_count 0
		.amdhsa_exception_fp_ieee_invalid_op 0
		.amdhsa_exception_fp_denorm_src 0
		.amdhsa_exception_fp_ieee_div_zero 0
		.amdhsa_exception_fp_ieee_overflow 0
		.amdhsa_exception_fp_ieee_underflow 0
		.amdhsa_exception_fp_ieee_inexact 0
		.amdhsa_exception_int_div_zero 0
	.end_amdhsa_kernel
	.section	.text._Z27flag_heads_and_tails_kernelIic15custom_flag_op2IiELj64ELj2EEvPT_PxS4_,"axG",@progbits,_Z27flag_heads_and_tails_kernelIic15custom_flag_op2IiELj64ELj2EEvPT_PxS4_,comdat
.Lfunc_end57:
	.size	_Z27flag_heads_and_tails_kernelIic15custom_flag_op2IiELj64ELj2EEvPT_PxS4_, .Lfunc_end57-_Z27flag_heads_and_tails_kernelIic15custom_flag_op2IiELj64ELj2EEvPT_PxS4_
                                        ; -- End function
	.set _Z27flag_heads_and_tails_kernelIic15custom_flag_op2IiELj64ELj2EEvPT_PxS4_.num_vgpr, 9
	.set _Z27flag_heads_and_tails_kernelIic15custom_flag_op2IiELj64ELj2EEvPT_PxS4_.num_agpr, 0
	.set _Z27flag_heads_and_tails_kernelIic15custom_flag_op2IiELj64ELj2EEvPT_PxS4_.numbered_sgpr, 14
	.set _Z27flag_heads_and_tails_kernelIic15custom_flag_op2IiELj64ELj2EEvPT_PxS4_.num_named_barrier, 0
	.set _Z27flag_heads_and_tails_kernelIic15custom_flag_op2IiELj64ELj2EEvPT_PxS4_.private_seg_size, 0
	.set _Z27flag_heads_and_tails_kernelIic15custom_flag_op2IiELj64ELj2EEvPT_PxS4_.uses_vcc, 1
	.set _Z27flag_heads_and_tails_kernelIic15custom_flag_op2IiELj64ELj2EEvPT_PxS4_.uses_flat_scratch, 0
	.set _Z27flag_heads_and_tails_kernelIic15custom_flag_op2IiELj64ELj2EEvPT_PxS4_.has_dyn_sized_stack, 0
	.set _Z27flag_heads_and_tails_kernelIic15custom_flag_op2IiELj64ELj2EEvPT_PxS4_.has_recursion, 0
	.set _Z27flag_heads_and_tails_kernelIic15custom_flag_op2IiELj64ELj2EEvPT_PxS4_.has_indirect_call, 0
	.section	.AMDGPU.csdata,"",@progbits
; Kernel info:
; codeLenInByte = 1228
; TotalNumSgprs: 16
; NumVgprs: 9
; ScratchSize: 0
; MemoryBound: 0
; FloatMode: 240
; IeeeMode: 1
; LDSByteSize: 512 bytes/workgroup (compile time only)
; SGPRBlocks: 0
; VGPRBlocks: 1
; NumSGPRsForWavesPerEU: 16
; NumVGPRsForWavesPerEU: 9
; Occupancy: 16
; WaveLimiterHint : 0
; COMPUTE_PGM_RSRC2:SCRATCH_EN: 0
; COMPUTE_PGM_RSRC2:USER_SGPR: 6
; COMPUTE_PGM_RSRC2:TRAP_HANDLER: 0
; COMPUTE_PGM_RSRC2:TGID_X_EN: 1
; COMPUTE_PGM_RSRC2:TGID_Y_EN: 0
; COMPUTE_PGM_RSRC2:TGID_Z_EN: 0
; COMPUTE_PGM_RSRC2:TIDIG_COMP_CNT: 0
	.section	.text._Z27flag_heads_and_tails_kernelIhbN6hipcub8EqualityELj255ELj1EEvPT_PxS4_,"axG",@progbits,_Z27flag_heads_and_tails_kernelIhbN6hipcub8EqualityELj255ELj1EEvPT_PxS4_,comdat
	.protected	_Z27flag_heads_and_tails_kernelIhbN6hipcub8EqualityELj255ELj1EEvPT_PxS4_ ; -- Begin function _Z27flag_heads_and_tails_kernelIhbN6hipcub8EqualityELj255ELj1EEvPT_PxS4_
	.globl	_Z27flag_heads_and_tails_kernelIhbN6hipcub8EqualityELj255ELj1EEvPT_PxS4_
	.p2align	8
	.type	_Z27flag_heads_and_tails_kernelIhbN6hipcub8EqualityELj255ELj1EEvPT_PxS4_,@function
_Z27flag_heads_and_tails_kernelIhbN6hipcub8EqualityELj255ELj1EEvPT_PxS4_: ; @_Z27flag_heads_and_tails_kernelIhbN6hipcub8EqualityELj255ELj1EEvPT_PxS4_
; %bb.0:
	s_load_dwordx4 s[0:3], s[4:5], 0x0
	s_mul_i32 s8, s6, 0xff
	s_load_dwordx2 s[4:5], s[4:5], 0x10
	s_mov_b32 s9, 0
	s_waitcnt lgkmcnt(0)
	s_add_u32 s10, s0, s8
	s_addc_u32 s11, s1, 0
	s_and_b32 s6, s6, 3
	global_load_ubyte v1, v0, s[10:11]
	s_cmp_lt_i32 s6, 2
	s_cbranch_scc1 .LBB58_8
; %bb.1:
	s_cmp_gt_i32 s6, 2
	s_cbranch_scc0 .LBB58_9
; %bb.2:
	v_mov_b32_e32 v2, 1
	s_mov_b32 s7, exec_lo
	s_waitcnt vmcnt(0)
	ds_write_b8 v0, v1
	s_waitcnt lgkmcnt(0)
	s_barrier
	buffer_gl0_inv
	v_cmpx_ne_u32_e32 0, v0
	s_cbranch_execz .LBB58_4
; %bb.3:
	v_add_nc_u32_e32 v2, -1, v0
	ds_read_u8 v2, v2
	s_waitcnt lgkmcnt(0)
	v_cmp_eq_u16_sdwa s10, v2, v1 src0_sel:DWORD src1_sel:BYTE_0
	v_cndmask_b32_e64 v2, 0, 1, s10
.LBB58_4:
	s_or_b32 exec_lo, exec_lo, s7
	s_mov_b32 s7, -1
	s_mov_b32 s10, exec_lo
	ds_write_b8 v0, v1 offset:255
	s_waitcnt lgkmcnt(0)
	s_barrier
	buffer_gl0_inv
	v_cmpx_ne_u32_e32 0xfe, v0
	s_cbranch_execz .LBB58_6
; %bb.5:
	ds_read_u8 v3, v0 offset:256
	s_waitcnt lgkmcnt(0)
	v_cmp_eq_u16_sdwa s7, v1, v3 src0_sel:BYTE_0 src1_sel:DWORD
	s_orn2_b32 s7, s7, exec_lo
.LBB58_6:
	s_or_b32 exec_lo, exec_lo, s10
.LBB58_7:
	s_cbranch_execz .LBB58_15
	s_branch .LBB58_27
.LBB58_8:
                                        ; implicit-def: $sgpr7
                                        ; implicit-def: $vgpr2
	s_branch .LBB58_15
.LBB58_9:
                                        ; implicit-def: $sgpr7
                                        ; implicit-def: $vgpr2
	s_cbranch_execz .LBB58_7
; %bb.10:
	s_add_i32 s7, s8, -1
	s_mov_b32 s10, exec_lo
	v_mov_b32_e32 v2, s7
	s_mov_b32 s7, -1
	s_waitcnt vmcnt(0)
	ds_write_b8 v0, v1
	global_load_ubyte v2, v2, s[0:1]
	s_waitcnt vmcnt(0) lgkmcnt(0)
	s_barrier
	buffer_gl0_inv
	v_cmpx_ne_u32_e32 0, v0
; %bb.11:
	v_add_nc_u32_e32 v2, -1, v0
	ds_read_u8 v2, v2
; %bb.12:
	s_or_b32 exec_lo, exec_lo, s10
	s_waitcnt lgkmcnt(0)
	v_cmp_eq_u16_sdwa s10, v2, v1 src0_sel:BYTE_0 src1_sel:BYTE_0
	s_mov_b32 s11, exec_lo
	ds_write_b8 v0, v1 offset:255
	s_waitcnt lgkmcnt(0)
	s_barrier
	buffer_gl0_inv
	v_cmpx_ne_u32_e32 0xfe, v0
	s_cbranch_execz .LBB58_14
; %bb.13:
	ds_read_u8 v2, v0 offset:256
	s_waitcnt lgkmcnt(0)
	v_cmp_eq_u16_sdwa s7, v1, v2 src0_sel:BYTE_0 src1_sel:DWORD
	s_orn2_b32 s7, s7, exec_lo
.LBB58_14:
	s_or_b32 exec_lo, exec_lo, s11
	v_cndmask_b32_e64 v2, 0, 1, s10
	s_cbranch_execnz .LBB58_27
.LBB58_15:
	s_cmp_eq_u32 s6, 1
	v_cmp_ne_u32_e32 vcc_lo, 0, v0
	s_cbranch_scc1 .LBB58_21
; %bb.16:
	s_add_i32 s6, s8, 0xff
	s_waitcnt vmcnt(0)
	ds_write_b8 v0, v1
	v_mov_b32_e32 v2, s6
	global_load_ubyte v3, v2, s[0:1]
	v_mov_b32_e32 v2, 1
	s_waitcnt vmcnt(0) lgkmcnt(0)
	s_barrier
	buffer_gl0_inv
	s_and_saveexec_b32 s6, vcc_lo
	s_cbranch_execz .LBB58_18
; %bb.17:
	v_add_nc_u32_e32 v2, -1, v0
	ds_read_u8 v2, v2
	s_waitcnt lgkmcnt(0)
	v_cmp_eq_u16_sdwa s7, v2, v1 src0_sel:DWORD src1_sel:BYTE_0
	v_cndmask_b32_e64 v2, 0, 1, s7
.LBB58_18:
	s_or_b32 exec_lo, exec_lo, s6
	s_mov_b32 s6, exec_lo
	ds_write_b8 v0, v1 offset:255
	s_waitcnt lgkmcnt(0)
	s_barrier
	buffer_gl0_inv
	v_cmpx_ne_u32_e32 0xfe, v0
; %bb.19:
	ds_read_u8 v3, v0 offset:256
; %bb.20:
	s_or_b32 exec_lo, exec_lo, s6
	s_waitcnt lgkmcnt(0)
	v_cmp_eq_u16_sdwa s7, v1, v3 src0_sel:BYTE_0 src1_sel:BYTE_0
	s_branch .LBB58_27
.LBB58_21:
                                        ; implicit-def: $sgpr7
                                        ; implicit-def: $vgpr2
	s_cbranch_execz .LBB58_27
; %bb.22:
	s_add_i32 s6, s8, -1
	s_add_i32 s7, s8, 0xff
	v_mov_b32_e32 v2, s6
	v_mov_b32_e32 v3, s7
	s_clause 0x1
	global_load_ubyte v2, v2, s[0:1]
	global_load_ubyte v3, v3, s[0:1]
	s_mov_b32 s0, exec_lo
	s_waitcnt vmcnt(2)
	ds_write_b8 v0, v1
	s_waitcnt vmcnt(0) lgkmcnt(0)
	s_barrier
	buffer_gl0_inv
	v_cmpx_ne_u32_e32 0, v0
; %bb.23:
	v_add_nc_u32_e32 v2, -1, v0
	ds_read_u8 v2, v2
; %bb.24:
	s_or_b32 exec_lo, exec_lo, s0
	s_mov_b32 s0, exec_lo
	ds_write_b8 v0, v1 offset:255
	s_waitcnt lgkmcnt(0)
	s_barrier
	buffer_gl0_inv
	v_cmpx_ne_u32_e32 0xfe, v0
; %bb.25:
	ds_read_u8 v3, v0 offset:256
; %bb.26:
	s_or_b32 exec_lo, exec_lo, s0
	v_cmp_eq_u16_sdwa s0, v2, v1 src0_sel:BYTE_0 src1_sel:BYTE_0
	s_waitcnt lgkmcnt(0)
	v_cmp_eq_u16_sdwa s7, v1, v3 src0_sel:BYTE_0 src1_sel:BYTE_0
	v_cndmask_b32_e64 v2, 0, 1, s0
.LBB58_27:
	s_lshl_b64 s[0:1], s[8:9], 3
	s_mov_b32 s6, 0
	v_lshlrev_b32_e32 v4, 3, v0
	v_and_b32_e32 v0, 0xff, v2
	s_waitcnt vmcnt(0)
	v_mov_b32_e32 v1, 0
	s_add_u32 s2, s2, s0
	v_cndmask_b32_e64 v2, 0, 1, s7
	v_mov_b32_e32 v3, s6
	s_addc_u32 s3, s3, s1
	s_add_u32 s0, s4, s0
	s_addc_u32 s1, s5, s1
	global_store_dwordx2 v4, v[0:1], s[2:3]
	global_store_dwordx2 v4, v[2:3], s[0:1]
	s_endpgm
	.section	.rodata,"a",@progbits
	.p2align	6, 0x0
	.amdhsa_kernel _Z27flag_heads_and_tails_kernelIhbN6hipcub8EqualityELj255ELj1EEvPT_PxS4_
		.amdhsa_group_segment_fixed_size 510
		.amdhsa_private_segment_fixed_size 0
		.amdhsa_kernarg_size 24
		.amdhsa_user_sgpr_count 6
		.amdhsa_user_sgpr_private_segment_buffer 1
		.amdhsa_user_sgpr_dispatch_ptr 0
		.amdhsa_user_sgpr_queue_ptr 0
		.amdhsa_user_sgpr_kernarg_segment_ptr 1
		.amdhsa_user_sgpr_dispatch_id 0
		.amdhsa_user_sgpr_flat_scratch_init 0
		.amdhsa_user_sgpr_private_segment_size 0
		.amdhsa_wavefront_size32 1
		.amdhsa_uses_dynamic_stack 0
		.amdhsa_system_sgpr_private_segment_wavefront_offset 0
		.amdhsa_system_sgpr_workgroup_id_x 1
		.amdhsa_system_sgpr_workgroup_id_y 0
		.amdhsa_system_sgpr_workgroup_id_z 0
		.amdhsa_system_sgpr_workgroup_info 0
		.amdhsa_system_vgpr_workitem_id 0
		.amdhsa_next_free_vgpr 5
		.amdhsa_next_free_sgpr 12
		.amdhsa_reserve_vcc 1
		.amdhsa_reserve_flat_scratch 0
		.amdhsa_float_round_mode_32 0
		.amdhsa_float_round_mode_16_64 0
		.amdhsa_float_denorm_mode_32 3
		.amdhsa_float_denorm_mode_16_64 3
		.amdhsa_dx10_clamp 1
		.amdhsa_ieee_mode 1
		.amdhsa_fp16_overflow 0
		.amdhsa_workgroup_processor_mode 1
		.amdhsa_memory_ordered 1
		.amdhsa_forward_progress 1
		.amdhsa_shared_vgpr_count 0
		.amdhsa_exception_fp_ieee_invalid_op 0
		.amdhsa_exception_fp_denorm_src 0
		.amdhsa_exception_fp_ieee_div_zero 0
		.amdhsa_exception_fp_ieee_overflow 0
		.amdhsa_exception_fp_ieee_underflow 0
		.amdhsa_exception_fp_ieee_inexact 0
		.amdhsa_exception_int_div_zero 0
	.end_amdhsa_kernel
	.section	.text._Z27flag_heads_and_tails_kernelIhbN6hipcub8EqualityELj255ELj1EEvPT_PxS4_,"axG",@progbits,_Z27flag_heads_and_tails_kernelIhbN6hipcub8EqualityELj255ELj1EEvPT_PxS4_,comdat
.Lfunc_end58:
	.size	_Z27flag_heads_and_tails_kernelIhbN6hipcub8EqualityELj255ELj1EEvPT_PxS4_, .Lfunc_end58-_Z27flag_heads_and_tails_kernelIhbN6hipcub8EqualityELj255ELj1EEvPT_PxS4_
                                        ; -- End function
	.set _Z27flag_heads_and_tails_kernelIhbN6hipcub8EqualityELj255ELj1EEvPT_PxS4_.num_vgpr, 5
	.set _Z27flag_heads_and_tails_kernelIhbN6hipcub8EqualityELj255ELj1EEvPT_PxS4_.num_agpr, 0
	.set _Z27flag_heads_and_tails_kernelIhbN6hipcub8EqualityELj255ELj1EEvPT_PxS4_.numbered_sgpr, 12
	.set _Z27flag_heads_and_tails_kernelIhbN6hipcub8EqualityELj255ELj1EEvPT_PxS4_.num_named_barrier, 0
	.set _Z27flag_heads_and_tails_kernelIhbN6hipcub8EqualityELj255ELj1EEvPT_PxS4_.private_seg_size, 0
	.set _Z27flag_heads_and_tails_kernelIhbN6hipcub8EqualityELj255ELj1EEvPT_PxS4_.uses_vcc, 1
	.set _Z27flag_heads_and_tails_kernelIhbN6hipcub8EqualityELj255ELj1EEvPT_PxS4_.uses_flat_scratch, 0
	.set _Z27flag_heads_and_tails_kernelIhbN6hipcub8EqualityELj255ELj1EEvPT_PxS4_.has_dyn_sized_stack, 0
	.set _Z27flag_heads_and_tails_kernelIhbN6hipcub8EqualityELj255ELj1EEvPT_PxS4_.has_recursion, 0
	.set _Z27flag_heads_and_tails_kernelIhbN6hipcub8EqualityELj255ELj1EEvPT_PxS4_.has_indirect_call, 0
	.section	.AMDGPU.csdata,"",@progbits
; Kernel info:
; codeLenInByte = 820
; TotalNumSgprs: 14
; NumVgprs: 5
; ScratchSize: 0
; MemoryBound: 0
; FloatMode: 240
; IeeeMode: 1
; LDSByteSize: 510 bytes/workgroup (compile time only)
; SGPRBlocks: 0
; VGPRBlocks: 0
; NumSGPRsForWavesPerEU: 14
; NumVGPRsForWavesPerEU: 5
; Occupancy: 16
; WaveLimiterHint : 0
; COMPUTE_PGM_RSRC2:SCRATCH_EN: 0
; COMPUTE_PGM_RSRC2:USER_SGPR: 6
; COMPUTE_PGM_RSRC2:TRAP_HANDLER: 0
; COMPUTE_PGM_RSRC2:TGID_X_EN: 1
; COMPUTE_PGM_RSRC2:TGID_Y_EN: 0
; COMPUTE_PGM_RSRC2:TGID_Z_EN: 0
; COMPUTE_PGM_RSRC2:TIDIG_COMP_CNT: 0
	.section	.text._Z27flag_heads_and_tails_kernelIjxN6hipcub10InequalityELj162ELj1EEvPT_PxS4_,"axG",@progbits,_Z27flag_heads_and_tails_kernelIjxN6hipcub10InequalityELj162ELj1EEvPT_PxS4_,comdat
	.protected	_Z27flag_heads_and_tails_kernelIjxN6hipcub10InequalityELj162ELj1EEvPT_PxS4_ ; -- Begin function _Z27flag_heads_and_tails_kernelIjxN6hipcub10InequalityELj162ELj1EEvPT_PxS4_
	.globl	_Z27flag_heads_and_tails_kernelIjxN6hipcub10InequalityELj162ELj1EEvPT_PxS4_
	.p2align	8
	.type	_Z27flag_heads_and_tails_kernelIjxN6hipcub10InequalityELj162ELj1EEvPT_PxS4_,@function
_Z27flag_heads_and_tails_kernelIjxN6hipcub10InequalityELj162ELj1EEvPT_PxS4_: ; @_Z27flag_heads_and_tails_kernelIjxN6hipcub10InequalityELj162ELj1EEvPT_PxS4_
; %bb.0:
	s_load_dwordx4 s[0:3], s[4:5], 0x0
	s_mul_i32 s8, s6, 0xa2
	s_mov_b32 s9, 0
	v_lshlrev_b32_e32 v4, 2, v0
	s_lshl_b64 s[10:11], s[8:9], 2
	s_load_dwordx2 s[4:5], s[4:5], 0x10
	s_waitcnt lgkmcnt(0)
	s_add_u32 s10, s0, s10
	s_addc_u32 s11, s1, s11
	global_load_dword v3, v4, s[10:11]
	s_and_b32 s10, s6, 3
	s_cmp_lt_i32 s10, 2
	s_cbranch_scc1 .LBB59_8
; %bb.1:
	s_cmp_gt_i32 s10, 2
	s_cbranch_scc0 .LBB59_9
; %bb.2:
	v_mov_b32_e32 v1, 1
	v_mov_b32_e32 v2, 0
	s_mov_b32 s7, 0
	s_mov_b32 s6, exec_lo
	s_waitcnt vmcnt(0)
	ds_write_b32 v4, v3
	s_waitcnt lgkmcnt(0)
	s_barrier
	buffer_gl0_inv
	v_cmpx_ne_u32_e32 0, v0
	s_cbranch_execz .LBB59_4
; %bb.3:
	v_add_nc_u32_e32 v1, -4, v4
	v_mov_b32_e32 v2, s7
	ds_read_b32 v1, v1
	s_waitcnt lgkmcnt(0)
	v_cmp_ne_u32_e32 vcc_lo, v1, v3
	v_cndmask_b32_e64 v1, 0, 1, vcc_lo
.LBB59_4:
	s_or_b32 exec_lo, exec_lo, s6
	s_mov_b32 s6, -1
	s_mov_b32 s7, exec_lo
	ds_write_b32 v4, v3 offset:648
	s_waitcnt lgkmcnt(0)
	s_barrier
	buffer_gl0_inv
	v_cmpx_ne_u32_e32 0xa1, v0
	s_cbranch_execz .LBB59_6
; %bb.5:
	ds_read_b32 v5, v4 offset:652
	s_waitcnt lgkmcnt(0)
	v_cmp_ne_u32_e32 vcc_lo, v3, v5
	s_orn2_b32 s6, vcc_lo, exec_lo
.LBB59_6:
	s_or_b32 exec_lo, exec_lo, s7
.LBB59_7:
	s_cbranch_execz .LBB59_15
	s_branch .LBB59_27
.LBB59_8:
                                        ; implicit-def: $sgpr6
                                        ; implicit-def: $vgpr1_vgpr2
	s_branch .LBB59_15
.LBB59_9:
                                        ; implicit-def: $sgpr6
                                        ; implicit-def: $vgpr1_vgpr2
	s_cbranch_execz .LBB59_7
; %bb.10:
	s_add_i32 s6, s8, -1
	s_mov_b32 s7, 0
	s_waitcnt vmcnt(0)
	ds_write_b32 v4, v3
	s_lshl_b64 s[12:13], s[6:7], 2
	s_mov_b32 s6, -1
	s_add_u32 s12, s0, s12
	s_addc_u32 s13, s1, s13
	s_load_dword s11, s[12:13], 0x0
	s_waitcnt lgkmcnt(0)
	s_barrier
	buffer_gl0_inv
	v_mov_b32_e32 v1, s11
	s_mov_b32 s11, exec_lo
	v_cmpx_ne_u32_e32 0, v0
; %bb.11:
	v_add_nc_u32_e32 v1, -4, v4
	ds_read_b32 v1, v1
; %bb.12:
	s_or_b32 exec_lo, exec_lo, s11
	s_waitcnt lgkmcnt(0)
	v_cmp_ne_u32_e32 vcc_lo, v1, v3
	s_mov_b32 s11, exec_lo
	ds_write_b32 v4, v3 offset:648
	s_waitcnt lgkmcnt(0)
	s_barrier
	v_cndmask_b32_e64 v1, 0, 1, vcc_lo
	buffer_gl0_inv
	v_cmpx_ne_u32_e32 0xa1, v0
	s_cbranch_execz .LBB59_14
; %bb.13:
	ds_read_b32 v2, v4 offset:652
	s_waitcnt lgkmcnt(0)
	v_cmp_ne_u32_e32 vcc_lo, v3, v2
	s_orn2_b32 s6, vcc_lo, exec_lo
.LBB59_14:
	s_or_b32 exec_lo, exec_lo, s11
	v_mov_b32_e32 v2, s7
	s_cbranch_execnz .LBB59_27
.LBB59_15:
	s_cmp_eq_u32 s10, 1
	v_cmp_ne_u32_e32 vcc_lo, 0, v0
	s_cbranch_scc1 .LBB59_21
; %bb.16:
	s_add_i32 s6, s8, 0xa2
	s_mov_b32 s7, 0
	v_mov_b32_e32 v1, 1
	s_lshl_b64 s[10:11], s[6:7], 2
	v_mov_b32_e32 v2, 0
	s_add_u32 s10, s0, s10
	s_addc_u32 s11, s1, s11
	s_waitcnt vmcnt(0)
	ds_write_b32 v4, v3
	s_load_dword s6, s[10:11], 0x0
	s_waitcnt lgkmcnt(0)
	s_barrier
	buffer_gl0_inv
	s_and_saveexec_b32 s10, vcc_lo
	s_cbranch_execz .LBB59_18
; %bb.17:
	v_add_nc_u32_e32 v1, -4, v4
	v_mov_b32_e32 v2, s7
	ds_read_b32 v1, v1
	s_waitcnt lgkmcnt(0)
	v_cmp_ne_u32_e32 vcc_lo, v1, v3
	v_cndmask_b32_e64 v1, 0, 1, vcc_lo
.LBB59_18:
	s_or_b32 exec_lo, exec_lo, s10
	v_mov_b32_e32 v5, s6
	s_mov_b32 s6, exec_lo
	ds_write_b32 v4, v3 offset:648
	s_waitcnt lgkmcnt(0)
	s_barrier
	buffer_gl0_inv
	v_cmpx_ne_u32_e32 0xa1, v0
; %bb.19:
	ds_read_b32 v5, v4 offset:652
; %bb.20:
	s_or_b32 exec_lo, exec_lo, s6
	s_waitcnt lgkmcnt(0)
	v_cmp_ne_u32_e64 s6, v3, v5
	s_and_b32 vcc_lo, exec_lo, s7
	s_cbranch_vccnz .LBB59_22
	s_branch .LBB59_27
.LBB59_21:
                                        ; implicit-def: $sgpr6
                                        ; implicit-def: $vgpr1_vgpr2
	s_cbranch_execz .LBB59_27
.LBB59_22:
	s_add_i32 s6, s8, -1
	s_mov_b32 s7, 0
	s_waitcnt vmcnt(0)
	ds_write_b32 v4, v3
	s_lshl_b64 s[10:11], s[6:7], 2
	s_add_u32 s10, s0, s10
	s_addc_u32 s11, s1, s11
	s_add_i32 s6, s8, 0xa2
	s_load_dword s10, s[10:11], 0x0
	s_lshl_b64 s[6:7], s[6:7], 2
	s_add_u32 s0, s0, s6
	s_addc_u32 s1, s1, s7
	s_load_dword s0, s[0:1], 0x0
	s_mov_b32 s1, exec_lo
	s_waitcnt lgkmcnt(0)
	s_barrier
	buffer_gl0_inv
	v_mov_b32_e32 v1, s10
	v_cmpx_ne_u32_e32 0, v0
; %bb.23:
	v_add_nc_u32_e32 v1, -4, v4
	ds_read_b32 v1, v1
; %bb.24:
	s_or_b32 exec_lo, exec_lo, s1
	v_mov_b32_e32 v5, s0
	s_mov_b32 s0, exec_lo
	ds_write_b32 v4, v3 offset:648
	s_waitcnt lgkmcnt(0)
	s_barrier
	buffer_gl0_inv
	v_cmpx_ne_u32_e32 0xa1, v0
; %bb.25:
	ds_read_b32 v5, v4 offset:652
; %bb.26:
	s_or_b32 exec_lo, exec_lo, s0
	v_cmp_ne_u32_e32 vcc_lo, v1, v3
	s_mov_b32 s0, 0
	s_waitcnt lgkmcnt(0)
	v_cmp_ne_u32_e64 s6, v3, v5
	v_mov_b32_e32 v2, s0
	v_cndmask_b32_e64 v1, 0, 1, vcc_lo
.LBB59_27:
	s_mov_b32 s0, 0
	v_lshlrev_b32_e32 v0, 3, v0
	v_mov_b32_e32 v4, s0
	s_lshl_b64 s[0:1], s[8:9], 3
	s_waitcnt vmcnt(0)
	v_cndmask_b32_e64 v3, 0, 1, s6
	s_add_u32 s2, s2, s0
	s_addc_u32 s3, s3, s1
	s_add_u32 s0, s4, s0
	s_addc_u32 s1, s5, s1
	global_store_dwordx2 v0, v[1:2], s[2:3]
	global_store_dwordx2 v0, v[3:4], s[0:1]
	s_endpgm
	.section	.rodata,"a",@progbits
	.p2align	6, 0x0
	.amdhsa_kernel _Z27flag_heads_and_tails_kernelIjxN6hipcub10InequalityELj162ELj1EEvPT_PxS4_
		.amdhsa_group_segment_fixed_size 1296
		.amdhsa_private_segment_fixed_size 0
		.amdhsa_kernarg_size 24
		.amdhsa_user_sgpr_count 6
		.amdhsa_user_sgpr_private_segment_buffer 1
		.amdhsa_user_sgpr_dispatch_ptr 0
		.amdhsa_user_sgpr_queue_ptr 0
		.amdhsa_user_sgpr_kernarg_segment_ptr 1
		.amdhsa_user_sgpr_dispatch_id 0
		.amdhsa_user_sgpr_flat_scratch_init 0
		.amdhsa_user_sgpr_private_segment_size 0
		.amdhsa_wavefront_size32 1
		.amdhsa_uses_dynamic_stack 0
		.amdhsa_system_sgpr_private_segment_wavefront_offset 0
		.amdhsa_system_sgpr_workgroup_id_x 1
		.amdhsa_system_sgpr_workgroup_id_y 0
		.amdhsa_system_sgpr_workgroup_id_z 0
		.amdhsa_system_sgpr_workgroup_info 0
		.amdhsa_system_vgpr_workitem_id 0
		.amdhsa_next_free_vgpr 6
		.amdhsa_next_free_sgpr 14
		.amdhsa_reserve_vcc 1
		.amdhsa_reserve_flat_scratch 0
		.amdhsa_float_round_mode_32 0
		.amdhsa_float_round_mode_16_64 0
		.amdhsa_float_denorm_mode_32 3
		.amdhsa_float_denorm_mode_16_64 3
		.amdhsa_dx10_clamp 1
		.amdhsa_ieee_mode 1
		.amdhsa_fp16_overflow 0
		.amdhsa_workgroup_processor_mode 1
		.amdhsa_memory_ordered 1
		.amdhsa_forward_progress 1
		.amdhsa_shared_vgpr_count 0
		.amdhsa_exception_fp_ieee_invalid_op 0
		.amdhsa_exception_fp_denorm_src 0
		.amdhsa_exception_fp_ieee_div_zero 0
		.amdhsa_exception_fp_ieee_overflow 0
		.amdhsa_exception_fp_ieee_underflow 0
		.amdhsa_exception_fp_ieee_inexact 0
		.amdhsa_exception_int_div_zero 0
	.end_amdhsa_kernel
	.section	.text._Z27flag_heads_and_tails_kernelIjxN6hipcub10InequalityELj162ELj1EEvPT_PxS4_,"axG",@progbits,_Z27flag_heads_and_tails_kernelIjxN6hipcub10InequalityELj162ELj1EEvPT_PxS4_,comdat
.Lfunc_end59:
	.size	_Z27flag_heads_and_tails_kernelIjxN6hipcub10InequalityELj162ELj1EEvPT_PxS4_, .Lfunc_end59-_Z27flag_heads_and_tails_kernelIjxN6hipcub10InequalityELj162ELj1EEvPT_PxS4_
                                        ; -- End function
	.set _Z27flag_heads_and_tails_kernelIjxN6hipcub10InequalityELj162ELj1EEvPT_PxS4_.num_vgpr, 6
	.set _Z27flag_heads_and_tails_kernelIjxN6hipcub10InequalityELj162ELj1EEvPT_PxS4_.num_agpr, 0
	.set _Z27flag_heads_and_tails_kernelIjxN6hipcub10InequalityELj162ELj1EEvPT_PxS4_.numbered_sgpr, 14
	.set _Z27flag_heads_and_tails_kernelIjxN6hipcub10InequalityELj162ELj1EEvPT_PxS4_.num_named_barrier, 0
	.set _Z27flag_heads_and_tails_kernelIjxN6hipcub10InequalityELj162ELj1EEvPT_PxS4_.private_seg_size, 0
	.set _Z27flag_heads_and_tails_kernelIjxN6hipcub10InequalityELj162ELj1EEvPT_PxS4_.uses_vcc, 1
	.set _Z27flag_heads_and_tails_kernelIjxN6hipcub10InequalityELj162ELj1EEvPT_PxS4_.uses_flat_scratch, 0
	.set _Z27flag_heads_and_tails_kernelIjxN6hipcub10InequalityELj162ELj1EEvPT_PxS4_.has_dyn_sized_stack, 0
	.set _Z27flag_heads_and_tails_kernelIjxN6hipcub10InequalityELj162ELj1EEvPT_PxS4_.has_recursion, 0
	.set _Z27flag_heads_and_tails_kernelIjxN6hipcub10InequalityELj162ELj1EEvPT_PxS4_.has_indirect_call, 0
	.section	.AMDGPU.csdata,"",@progbits
; Kernel info:
; codeLenInByte = 888
; TotalNumSgprs: 16
; NumVgprs: 6
; ScratchSize: 0
; MemoryBound: 0
; FloatMode: 240
; IeeeMode: 1
; LDSByteSize: 1296 bytes/workgroup (compile time only)
; SGPRBlocks: 0
; VGPRBlocks: 0
; NumSGPRsForWavesPerEU: 16
; NumVGPRsForWavesPerEU: 6
; Occupancy: 16
; WaveLimiterHint : 0
; COMPUTE_PGM_RSRC2:SCRATCH_EN: 0
; COMPUTE_PGM_RSRC2:USER_SGPR: 6
; COMPUTE_PGM_RSRC2:TRAP_HANDLER: 0
; COMPUTE_PGM_RSRC2:TGID_X_EN: 1
; COMPUTE_PGM_RSRC2:TGID_Y_EN: 0
; COMPUTE_PGM_RSRC2:TGID_Z_EN: 0
; COMPUTE_PGM_RSRC2:TIDIG_COMP_CNT: 0
	.section	.text._Z27flag_heads_and_tails_kernelIxcN10test_utils13greater_equalELj510ELj1EEvPT_PxS4_,"axG",@progbits,_Z27flag_heads_and_tails_kernelIxcN10test_utils13greater_equalELj510ELj1EEvPT_PxS4_,comdat
	.protected	_Z27flag_heads_and_tails_kernelIxcN10test_utils13greater_equalELj510ELj1EEvPT_PxS4_ ; -- Begin function _Z27flag_heads_and_tails_kernelIxcN10test_utils13greater_equalELj510ELj1EEvPT_PxS4_
	.globl	_Z27flag_heads_and_tails_kernelIxcN10test_utils13greater_equalELj510ELj1EEvPT_PxS4_
	.p2align	8
	.type	_Z27flag_heads_and_tails_kernelIxcN10test_utils13greater_equalELj510ELj1EEvPT_PxS4_,@function
_Z27flag_heads_and_tails_kernelIxcN10test_utils13greater_equalELj510ELj1EEvPT_PxS4_: ; @_Z27flag_heads_and_tails_kernelIxcN10test_utils13greater_equalELj510ELj1EEvPT_PxS4_
; %bb.0:
	s_load_dwordx4 s[8:11], s[4:5], 0x0
	s_mul_i32 s12, s6, 0x1fe
	s_mov_b32 s13, 0
	v_lshlrev_b32_e32 v7, 3, v0
	s_lshl_b64 s[2:3], s[12:13], 3
	s_load_dwordx2 s[4:5], s[4:5], 0x10
	s_waitcnt lgkmcnt(0)
	s_add_u32 s0, s8, s2
	s_addc_u32 s1, s9, s3
	global_load_dwordx2 v[1:2], v7, s[0:1]
	s_and_b32 s1, s6, 3
	s_cmp_lt_i32 s1, 2
	s_cbranch_scc1 .LBB60_8
; %bb.1:
	s_cmp_gt_i32 s1, 2
	s_cbranch_scc0 .LBB60_9
; %bb.2:
	v_mov_b32_e32 v5, 1
	s_mov_b32 s0, exec_lo
	s_waitcnt vmcnt(0)
	ds_write_b64 v7, v[1:2]
	s_waitcnt lgkmcnt(0)
	s_barrier
	buffer_gl0_inv
	v_cmpx_ne_u32_e32 0, v0
	s_cbranch_execz .LBB60_4
; %bb.3:
	v_add_nc_u32_e32 v3, -8, v7
	ds_read_b64 v[3:4], v3
	s_waitcnt lgkmcnt(0)
	v_cmp_ge_i64_e32 vcc_lo, v[3:4], v[1:2]
	v_cndmask_b32_e64 v5, 0, 1, vcc_lo
.LBB60_4:
	s_or_b32 exec_lo, exec_lo, s0
	s_mov_b32 s6, -1
	s_mov_b32 s0, exec_lo
	ds_write_b64 v7, v[1:2] offset:4080
	s_waitcnt lgkmcnt(0)
	s_barrier
	buffer_gl0_inv
	v_cmpx_ne_u32_e32 0x1fd, v0
	s_cbranch_execz .LBB60_6
; %bb.5:
	ds_read_b64 v[3:4], v7 offset:4088
	s_waitcnt lgkmcnt(0)
	v_cmp_ge_i64_e32 vcc_lo, v[1:2], v[3:4]
	s_orn2_b32 s6, vcc_lo, exec_lo
.LBB60_6:
	s_or_b32 exec_lo, exec_lo, s0
.LBB60_7:
	s_cbranch_execz .LBB60_15
	s_branch .LBB60_27
.LBB60_8:
                                        ; implicit-def: $sgpr6
                                        ; implicit-def: $vgpr5
	s_branch .LBB60_15
.LBB60_9:
                                        ; implicit-def: $sgpr6
                                        ; implicit-def: $vgpr5
	s_cbranch_execz .LBB60_7
; %bb.10:
	s_add_i32 s6, s12, -1
	s_mov_b32 s7, 0
	s_mov_b32 s0, exec_lo
	s_lshl_b64 s[6:7], s[6:7], 3
	s_waitcnt vmcnt(0)
	ds_write_b64 v7, v[1:2]
	s_add_u32 s6, s8, s6
	s_addc_u32 s7, s9, s7
	s_load_dwordx2 s[14:15], s[6:7], 0x0
	s_mov_b32 s6, -1
	s_waitcnt lgkmcnt(0)
	s_barrier
	buffer_gl0_inv
	v_mov_b32_e32 v3, s14
	v_mov_b32_e32 v4, s15
	v_cmpx_ne_u32_e32 0, v0
; %bb.11:
	v_add_nc_u32_e32 v3, -8, v7
	ds_read_b64 v[3:4], v3
; %bb.12:
	s_or_b32 exec_lo, exec_lo, s0
	s_mov_b32 s7, exec_lo
	s_waitcnt lgkmcnt(0)
	v_cmp_ge_i64_e32 vcc_lo, v[3:4], v[1:2]
	ds_write_b64 v7, v[1:2] offset:4080
	s_waitcnt lgkmcnt(0)
	s_barrier
	buffer_gl0_inv
	v_cmpx_ne_u32_e32 0x1fd, v0
	s_cbranch_execz .LBB60_14
; %bb.13:
	ds_read_b64 v[3:4], v7 offset:4088
	s_waitcnt lgkmcnt(0)
	v_cmp_ge_i64_e64 s0, v[1:2], v[3:4]
	s_orn2_b32 s6, s0, exec_lo
.LBB60_14:
	s_or_b32 exec_lo, exec_lo, s7
	v_cndmask_b32_e64 v5, 0, 1, vcc_lo
	s_cbranch_execnz .LBB60_27
.LBB60_15:
	s_cmp_eq_u32 s1, 1
	v_cmp_ne_u32_e32 vcc_lo, 0, v0
	s_cbranch_scc1 .LBB60_21
; %bb.16:
	s_add_i32 s0, s12, 0x1fe
	s_mov_b32 s1, 0
	v_mov_b32_e32 v5, 1
	s_lshl_b64 s[0:1], s[0:1], 3
	s_waitcnt vmcnt(0)
	ds_write_b64 v7, v[1:2]
	s_add_u32 s0, s8, s0
	s_addc_u32 s1, s9, s1
	s_load_dwordx2 s[0:1], s[0:1], 0x0
	s_waitcnt lgkmcnt(0)
	s_barrier
	buffer_gl0_inv
	s_and_saveexec_b32 s6, vcc_lo
	s_cbranch_execz .LBB60_18
; %bb.17:
	v_add_nc_u32_e32 v3, -8, v7
	ds_read_b64 v[3:4], v3
	s_waitcnt lgkmcnt(0)
	v_cmp_ge_i64_e32 vcc_lo, v[3:4], v[1:2]
	v_cndmask_b32_e64 v5, 0, 1, vcc_lo
.LBB60_18:
	s_or_b32 exec_lo, exec_lo, s6
	v_mov_b32_e32 v4, s1
	v_mov_b32_e32 v3, s0
	s_mov_b32 s0, exec_lo
	ds_write_b64 v7, v[1:2] offset:4080
	s_waitcnt lgkmcnt(0)
	s_barrier
	buffer_gl0_inv
	v_cmpx_ne_u32_e32 0x1fd, v0
; %bb.19:
	ds_read_b64 v[3:4], v7 offset:4088
; %bb.20:
	s_or_b32 exec_lo, exec_lo, s0
	s_waitcnt lgkmcnt(0)
	v_cmp_ge_i64_e64 s6, v[1:2], v[3:4]
	s_branch .LBB60_27
.LBB60_21:
                                        ; implicit-def: $sgpr6
                                        ; implicit-def: $vgpr5
	s_cbranch_execz .LBB60_27
; %bb.22:
	s_add_i32 s0, s12, -1
	s_mov_b32 s1, 0
	s_waitcnt vmcnt(0)
	ds_write_b64 v7, v[1:2]
	s_lshl_b64 s[6:7], s[0:1], 3
	s_add_u32 s6, s8, s6
	s_addc_u32 s7, s9, s7
	s_add_i32 s0, s12, 0x1fe
	s_load_dwordx2 s[6:7], s[6:7], 0x0
	s_lshl_b64 s[0:1], s[0:1], 3
	s_add_u32 s0, s8, s0
	s_addc_u32 s1, s9, s1
	s_load_dwordx2 s[0:1], s[0:1], 0x0
	s_waitcnt lgkmcnt(0)
	s_barrier
	buffer_gl0_inv
	v_mov_b32_e32 v3, s6
	v_mov_b32_e32 v4, s7
	s_mov_b32 s6, exec_lo
	v_cmpx_ne_u32_e32 0, v0
; %bb.23:
	v_add_nc_u32_e32 v3, -8, v7
	ds_read_b64 v[3:4], v3
; %bb.24:
	s_or_b32 exec_lo, exec_lo, s6
	v_mov_b32_e32 v6, s1
	v_mov_b32_e32 v5, s0
	s_mov_b32 s0, exec_lo
	ds_write_b64 v7, v[1:2] offset:4080
	s_waitcnt lgkmcnt(0)
	s_barrier
	buffer_gl0_inv
	v_cmpx_ne_u32_e32 0x1fd, v0
; %bb.25:
	ds_read_b64 v[5:6], v7 offset:4088
; %bb.26:
	s_or_b32 exec_lo, exec_lo, s0
	v_cmp_ge_i64_e32 vcc_lo, v[3:4], v[1:2]
	s_waitcnt lgkmcnt(0)
	v_cmp_ge_i64_e64 s6, v[1:2], v[5:6]
	v_cndmask_b32_e64 v5, 0, 1, vcc_lo
.LBB60_27:
	s_mov_b32 s1, 0
	v_and_b32_e32 v0, 0xff, v5
	s_waitcnt vmcnt(0)
	v_mov_b32_e32 v1, 0
	s_add_u32 s0, s10, s2
	v_cndmask_b32_e64 v2, 0, 1, s6
	v_mov_b32_e32 v3, s1
	s_addc_u32 s1, s11, s3
	s_add_u32 s2, s4, s2
	s_addc_u32 s3, s5, s3
	global_store_dwordx2 v7, v[0:1], s[0:1]
	global_store_dwordx2 v7, v[2:3], s[2:3]
	s_endpgm
	.section	.rodata,"a",@progbits
	.p2align	6, 0x0
	.amdhsa_kernel _Z27flag_heads_and_tails_kernelIxcN10test_utils13greater_equalELj510ELj1EEvPT_PxS4_
		.amdhsa_group_segment_fixed_size 8160
		.amdhsa_private_segment_fixed_size 0
		.amdhsa_kernarg_size 24
		.amdhsa_user_sgpr_count 6
		.amdhsa_user_sgpr_private_segment_buffer 1
		.amdhsa_user_sgpr_dispatch_ptr 0
		.amdhsa_user_sgpr_queue_ptr 0
		.amdhsa_user_sgpr_kernarg_segment_ptr 1
		.amdhsa_user_sgpr_dispatch_id 0
		.amdhsa_user_sgpr_flat_scratch_init 0
		.amdhsa_user_sgpr_private_segment_size 0
		.amdhsa_wavefront_size32 1
		.amdhsa_uses_dynamic_stack 0
		.amdhsa_system_sgpr_private_segment_wavefront_offset 0
		.amdhsa_system_sgpr_workgroup_id_x 1
		.amdhsa_system_sgpr_workgroup_id_y 0
		.amdhsa_system_sgpr_workgroup_id_z 0
		.amdhsa_system_sgpr_workgroup_info 0
		.amdhsa_system_vgpr_workitem_id 0
		.amdhsa_next_free_vgpr 8
		.amdhsa_next_free_sgpr 16
		.amdhsa_reserve_vcc 1
		.amdhsa_reserve_flat_scratch 0
		.amdhsa_float_round_mode_32 0
		.amdhsa_float_round_mode_16_64 0
		.amdhsa_float_denorm_mode_32 3
		.amdhsa_float_denorm_mode_16_64 3
		.amdhsa_dx10_clamp 1
		.amdhsa_ieee_mode 1
		.amdhsa_fp16_overflow 0
		.amdhsa_workgroup_processor_mode 1
		.amdhsa_memory_ordered 1
		.amdhsa_forward_progress 1
		.amdhsa_shared_vgpr_count 0
		.amdhsa_exception_fp_ieee_invalid_op 0
		.amdhsa_exception_fp_denorm_src 0
		.amdhsa_exception_fp_ieee_div_zero 0
		.amdhsa_exception_fp_ieee_overflow 0
		.amdhsa_exception_fp_ieee_underflow 0
		.amdhsa_exception_fp_ieee_inexact 0
		.amdhsa_exception_int_div_zero 0
	.end_amdhsa_kernel
	.section	.text._Z27flag_heads_and_tails_kernelIxcN10test_utils13greater_equalELj510ELj1EEvPT_PxS4_,"axG",@progbits,_Z27flag_heads_and_tails_kernelIxcN10test_utils13greater_equalELj510ELj1EEvPT_PxS4_,comdat
.Lfunc_end60:
	.size	_Z27flag_heads_and_tails_kernelIxcN10test_utils13greater_equalELj510ELj1EEvPT_PxS4_, .Lfunc_end60-_Z27flag_heads_and_tails_kernelIxcN10test_utils13greater_equalELj510ELj1EEvPT_PxS4_
                                        ; -- End function
	.set _Z27flag_heads_and_tails_kernelIxcN10test_utils13greater_equalELj510ELj1EEvPT_PxS4_.num_vgpr, 8
	.set _Z27flag_heads_and_tails_kernelIxcN10test_utils13greater_equalELj510ELj1EEvPT_PxS4_.num_agpr, 0
	.set _Z27flag_heads_and_tails_kernelIxcN10test_utils13greater_equalELj510ELj1EEvPT_PxS4_.numbered_sgpr, 16
	.set _Z27flag_heads_and_tails_kernelIxcN10test_utils13greater_equalELj510ELj1EEvPT_PxS4_.num_named_barrier, 0
	.set _Z27flag_heads_and_tails_kernelIxcN10test_utils13greater_equalELj510ELj1EEvPT_PxS4_.private_seg_size, 0
	.set _Z27flag_heads_and_tails_kernelIxcN10test_utils13greater_equalELj510ELj1EEvPT_PxS4_.uses_vcc, 1
	.set _Z27flag_heads_and_tails_kernelIxcN10test_utils13greater_equalELj510ELj1EEvPT_PxS4_.uses_flat_scratch, 0
	.set _Z27flag_heads_and_tails_kernelIxcN10test_utils13greater_equalELj510ELj1EEvPT_PxS4_.has_dyn_sized_stack, 0
	.set _Z27flag_heads_and_tails_kernelIxcN10test_utils13greater_equalELj510ELj1EEvPT_PxS4_.has_recursion, 0
	.set _Z27flag_heads_and_tails_kernelIxcN10test_utils13greater_equalELj510ELj1EEvPT_PxS4_.has_indirect_call, 0
	.section	.AMDGPU.csdata,"",@progbits
; Kernel info:
; codeLenInByte = 872
; TotalNumSgprs: 18
; NumVgprs: 8
; ScratchSize: 0
; MemoryBound: 0
; FloatMode: 240
; IeeeMode: 1
; LDSByteSize: 8160 bytes/workgroup (compile time only)
; SGPRBlocks: 0
; VGPRBlocks: 0
; NumSGPRsForWavesPerEU: 18
; NumVGPRsForWavesPerEU: 8
; Occupancy: 16
; WaveLimiterHint : 0
; COMPUTE_PGM_RSRC2:SCRATCH_EN: 0
; COMPUTE_PGM_RSRC2:USER_SGPR: 6
; COMPUTE_PGM_RSRC2:TRAP_HANDLER: 0
; COMPUTE_PGM_RSRC2:TGID_X_EN: 1
; COMPUTE_PGM_RSRC2:TGID_Y_EN: 0
; COMPUTE_PGM_RSRC2:TGID_Z_EN: 0
; COMPUTE_PGM_RSRC2:TIDIG_COMP_CNT: 0
	.section	.text._Z27flag_heads_and_tails_kernelI12hip_bfloat16iN10test_utils7greaterELj37ELj1EEvPT_PxS5_,"axG",@progbits,_Z27flag_heads_and_tails_kernelI12hip_bfloat16iN10test_utils7greaterELj37ELj1EEvPT_PxS5_,comdat
	.protected	_Z27flag_heads_and_tails_kernelI12hip_bfloat16iN10test_utils7greaterELj37ELj1EEvPT_PxS5_ ; -- Begin function _Z27flag_heads_and_tails_kernelI12hip_bfloat16iN10test_utils7greaterELj37ELj1EEvPT_PxS5_
	.globl	_Z27flag_heads_and_tails_kernelI12hip_bfloat16iN10test_utils7greaterELj37ELj1EEvPT_PxS5_
	.p2align	8
	.type	_Z27flag_heads_and_tails_kernelI12hip_bfloat16iN10test_utils7greaterELj37ELj1EEvPT_PxS5_,@function
_Z27flag_heads_and_tails_kernelI12hip_bfloat16iN10test_utils7greaterELj37ELj1EEvPT_PxS5_: ; @_Z27flag_heads_and_tails_kernelI12hip_bfloat16iN10test_utils7greaterELj37ELj1EEvPT_PxS5_
; %bb.0:
	s_clause 0x1
	s_load_dwordx4 s[8:11], s[4:5], 0x0
	s_load_dwordx2 s[2:3], s[4:5], 0x10
	s_mul_i32 s12, s6, 37
	s_mov_b32 s13, 0
	v_lshlrev_b32_e32 v3, 1, v0
	s_lshl_b64 s[0:1], s[12:13], 1
	s_waitcnt lgkmcnt(0)
	s_add_u32 s0, s8, s0
	s_addc_u32 s1, s9, s1
	global_load_ushort v2, v3, s[0:1]
	s_and_b32 s1, s6, 3
	s_cmp_lt_i32 s1, 2
	s_cbranch_scc1 .LBB61_8
; %bb.1:
	s_cmp_gt_i32 s1, 2
	s_cbranch_scc0 .LBB61_9
; %bb.2:
	v_mov_b32_e32 v1, 1
	s_mov_b32 s0, exec_lo
	s_waitcnt vmcnt(0)
	ds_write_b16 v3, v2
	s_waitcnt lgkmcnt(0)
	s_barrier
	buffer_gl0_inv
	v_cmpx_ne_u32_e32 0, v0
	s_cbranch_execz .LBB61_4
; %bb.3:
	v_add_nc_u32_e32 v1, -2, v3
	v_lshlrev_b32_e32 v4, 16, v2
	ds_read_u16 v1, v1
	s_waitcnt lgkmcnt(0)
	v_lshlrev_b32_e32 v1, 16, v1
	v_cmp_lt_f32_e32 vcc_lo, v4, v1
	v_cndmask_b32_e64 v1, 0, 1, vcc_lo
.LBB61_4:
	s_or_b32 exec_lo, exec_lo, s0
	s_mov_b32 s4, -1
	s_mov_b32 s0, exec_lo
	ds_write_b16 v3, v2 offset:74
	s_waitcnt lgkmcnt(0)
	s_barrier
	buffer_gl0_inv
	v_cmpx_ne_u32_e32 36, v0
	s_cbranch_execz .LBB61_6
; %bb.5:
	ds_read_u16 v4, v3 offset:76
	v_lshlrev_b32_e32 v5, 16, v2
	s_waitcnt lgkmcnt(0)
	v_lshlrev_b32_e32 v4, 16, v4
	v_cmp_lt_f32_e32 vcc_lo, v4, v5
	s_orn2_b32 s4, vcc_lo, exec_lo
.LBB61_6:
	s_or_b32 exec_lo, exec_lo, s0
.LBB61_7:
	s_cbranch_execz .LBB61_15
	s_branch .LBB61_27
.LBB61_8:
                                        ; implicit-def: $sgpr4
                                        ; implicit-def: $vgpr1
	s_branch .LBB61_15
.LBB61_9:
                                        ; implicit-def: $sgpr4
                                        ; implicit-def: $vgpr1
	s_cbranch_execz .LBB61_7
; %bb.10:
	s_add_i32 s4, s12, -1
	s_mov_b32 s5, 0
	v_mov_b32_e32 v1, 0
	s_lshl_b64 s[4:5], s[4:5], 1
	s_mov_b32 s0, exec_lo
	s_add_u32 s4, s8, s4
	s_addc_u32 s5, s9, s5
	s_waitcnt vmcnt(0)
	ds_write_b16 v3, v2
	global_load_ushort v1, v1, s[4:5]
	s_mov_b32 s4, -1
	s_waitcnt vmcnt(0) lgkmcnt(0)
	s_barrier
	buffer_gl0_inv
	v_cmpx_ne_u32_e32 0, v0
; %bb.11:
	v_add_nc_u32_e32 v1, -2, v3
	ds_read_u16 v1, v1
; %bb.12:
	s_or_b32 exec_lo, exec_lo, s0
	v_lshlrev_b32_e32 v4, 16, v2
	s_waitcnt lgkmcnt(0)
	v_lshlrev_b32_e32 v1, 16, v1
	s_mov_b32 s5, exec_lo
	ds_write_b16 v3, v2 offset:74
	s_waitcnt lgkmcnt(0)
	s_barrier
	v_cmp_lt_f32_e32 vcc_lo, v4, v1
	buffer_gl0_inv
	v_cmpx_ne_u32_e32 36, v0
	s_cbranch_execz .LBB61_14
; %bb.13:
	ds_read_u16 v1, v3 offset:76
	s_waitcnt lgkmcnt(0)
	v_lshlrev_b32_e32 v1, 16, v1
	v_cmp_lt_f32_e64 s0, v1, v4
	s_orn2_b32 s4, s0, exec_lo
.LBB61_14:
	s_or_b32 exec_lo, exec_lo, s5
	v_cndmask_b32_e64 v1, 0, 1, vcc_lo
	s_cbranch_execnz .LBB61_27
.LBB61_15:
	s_cmp_eq_u32 s1, 1
	v_cmp_ne_u32_e32 vcc_lo, 0, v0
	s_cbranch_scc1 .LBB61_21
; %bb.16:
	s_add_i32 s0, s12, 37
	s_mov_b32 s1, 0
	v_mov_b32_e32 v1, 0
	s_lshl_b64 s[0:1], s[0:1], 1
	s_waitcnt vmcnt(0)
	ds_write_b16 v3, v2
	s_add_u32 s0, s8, s0
	s_addc_u32 s1, s9, s1
	global_load_ushort v4, v1, s[0:1]
	v_mov_b32_e32 v1, 1
	s_waitcnt vmcnt(0) lgkmcnt(0)
	s_barrier
	buffer_gl0_inv
	s_and_saveexec_b32 s0, vcc_lo
	s_cbranch_execz .LBB61_18
; %bb.17:
	v_add_nc_u32_e32 v1, -2, v3
	v_lshlrev_b32_e32 v5, 16, v2
	ds_read_u16 v1, v1
	s_waitcnt lgkmcnt(0)
	v_lshlrev_b32_e32 v1, 16, v1
	v_cmp_lt_f32_e32 vcc_lo, v5, v1
	v_cndmask_b32_e64 v1, 0, 1, vcc_lo
.LBB61_18:
	s_or_b32 exec_lo, exec_lo, s0
	s_mov_b32 s0, exec_lo
	ds_write_b16 v3, v2 offset:74
	s_waitcnt lgkmcnt(0)
	s_barrier
	buffer_gl0_inv
	v_cmpx_ne_u32_e32 36, v0
; %bb.19:
	ds_read_u16 v4, v3 offset:76
; %bb.20:
	s_or_b32 exec_lo, exec_lo, s0
	v_lshlrev_b32_e32 v5, 16, v2
	s_waitcnt lgkmcnt(0)
	v_lshlrev_b32_e32 v4, 16, v4
	v_cmp_lt_f32_e64 s4, v4, v5
	s_branch .LBB61_27
.LBB61_21:
                                        ; implicit-def: $sgpr4
                                        ; implicit-def: $vgpr1
	s_cbranch_execz .LBB61_27
; %bb.22:
	s_add_i32 s0, s12, -1
	s_mov_b32 s1, 0
	v_mov_b32_e32 v1, 0
	s_lshl_b64 s[4:5], s[0:1], 1
	s_add_u32 s4, s8, s4
	s_addc_u32 s5, s9, s5
	s_add_i32 s0, s12, 37
	s_lshl_b64 s[0:1], s[0:1], 1
	s_add_u32 s0, s8, s0
	s_addc_u32 s1, s9, s1
	s_clause 0x1
	global_load_ushort v4, v1, s[4:5]
	global_load_ushort v1, v1, s[0:1]
	s_mov_b32 s0, exec_lo
	s_waitcnt vmcnt(2)
	ds_write_b16 v3, v2
	s_waitcnt vmcnt(0) lgkmcnt(0)
	s_barrier
	buffer_gl0_inv
	v_cmpx_ne_u32_e32 0, v0
; %bb.23:
	v_add_nc_u32_e32 v4, -2, v3
	ds_read_u16 v4, v4
; %bb.24:
	s_or_b32 exec_lo, exec_lo, s0
	s_mov_b32 s0, exec_lo
	ds_write_b16 v3, v2 offset:74
	s_waitcnt lgkmcnt(0)
	s_barrier
	buffer_gl0_inv
	v_cmpx_ne_u32_e32 36, v0
; %bb.25:
	ds_read_u16 v1, v3 offset:76
; %bb.26:
	s_or_b32 exec_lo, exec_lo, s0
	v_lshlrev_b32_e32 v2, 16, v2
	v_lshlrev_b32_e32 v3, 16, v4
	s_waitcnt lgkmcnt(0)
	v_lshlrev_b32_e32 v4, 16, v1
	v_cmp_lt_f32_e32 vcc_lo, v2, v3
	v_cmp_lt_f32_e64 s4, v4, v2
	v_cndmask_b32_e64 v1, 0, 1, vcc_lo
.LBB61_27:
	s_lshl_b64 s[0:1], s[12:13], 3
	s_mov_b32 s5, 0
	v_lshlrev_b32_e32 v0, 3, v0
	s_waitcnt vmcnt(0)
	v_mov_b32_e32 v2, 0
	s_add_u32 s6, s10, s0
	v_cndmask_b32_e64 v3, 0, 1, s4
	v_mov_b32_e32 v4, s5
	s_addc_u32 s7, s11, s1
	s_add_u32 s0, s2, s0
	s_addc_u32 s1, s3, s1
	global_store_dwordx2 v0, v[1:2], s[6:7]
	global_store_dwordx2 v0, v[3:4], s[0:1]
	s_endpgm
	.section	.rodata,"a",@progbits
	.p2align	6, 0x0
	.amdhsa_kernel _Z27flag_heads_and_tails_kernelI12hip_bfloat16iN10test_utils7greaterELj37ELj1EEvPT_PxS5_
		.amdhsa_group_segment_fixed_size 148
		.amdhsa_private_segment_fixed_size 0
		.amdhsa_kernarg_size 24
		.amdhsa_user_sgpr_count 6
		.amdhsa_user_sgpr_private_segment_buffer 1
		.amdhsa_user_sgpr_dispatch_ptr 0
		.amdhsa_user_sgpr_queue_ptr 0
		.amdhsa_user_sgpr_kernarg_segment_ptr 1
		.amdhsa_user_sgpr_dispatch_id 0
		.amdhsa_user_sgpr_flat_scratch_init 0
		.amdhsa_user_sgpr_private_segment_size 0
		.amdhsa_wavefront_size32 1
		.amdhsa_uses_dynamic_stack 0
		.amdhsa_system_sgpr_private_segment_wavefront_offset 0
		.amdhsa_system_sgpr_workgroup_id_x 1
		.amdhsa_system_sgpr_workgroup_id_y 0
		.amdhsa_system_sgpr_workgroup_id_z 0
		.amdhsa_system_sgpr_workgroup_info 0
		.amdhsa_system_vgpr_workitem_id 0
		.amdhsa_next_free_vgpr 6
		.amdhsa_next_free_sgpr 14
		.amdhsa_reserve_vcc 1
		.amdhsa_reserve_flat_scratch 0
		.amdhsa_float_round_mode_32 0
		.amdhsa_float_round_mode_16_64 0
		.amdhsa_float_denorm_mode_32 3
		.amdhsa_float_denorm_mode_16_64 3
		.amdhsa_dx10_clamp 1
		.amdhsa_ieee_mode 1
		.amdhsa_fp16_overflow 0
		.amdhsa_workgroup_processor_mode 1
		.amdhsa_memory_ordered 1
		.amdhsa_forward_progress 1
		.amdhsa_shared_vgpr_count 0
		.amdhsa_exception_fp_ieee_invalid_op 0
		.amdhsa_exception_fp_denorm_src 0
		.amdhsa_exception_fp_ieee_div_zero 0
		.amdhsa_exception_fp_ieee_overflow 0
		.amdhsa_exception_fp_ieee_underflow 0
		.amdhsa_exception_fp_ieee_inexact 0
		.amdhsa_exception_int_div_zero 0
	.end_amdhsa_kernel
	.section	.text._Z27flag_heads_and_tails_kernelI12hip_bfloat16iN10test_utils7greaterELj37ELj1EEvPT_PxS5_,"axG",@progbits,_Z27flag_heads_and_tails_kernelI12hip_bfloat16iN10test_utils7greaterELj37ELj1EEvPT_PxS5_,comdat
.Lfunc_end61:
	.size	_Z27flag_heads_and_tails_kernelI12hip_bfloat16iN10test_utils7greaterELj37ELj1EEvPT_PxS5_, .Lfunc_end61-_Z27flag_heads_and_tails_kernelI12hip_bfloat16iN10test_utils7greaterELj37ELj1EEvPT_PxS5_
                                        ; -- End function
	.set _Z27flag_heads_and_tails_kernelI12hip_bfloat16iN10test_utils7greaterELj37ELj1EEvPT_PxS5_.num_vgpr, 6
	.set _Z27flag_heads_and_tails_kernelI12hip_bfloat16iN10test_utils7greaterELj37ELj1EEvPT_PxS5_.num_agpr, 0
	.set _Z27flag_heads_and_tails_kernelI12hip_bfloat16iN10test_utils7greaterELj37ELj1EEvPT_PxS5_.numbered_sgpr, 14
	.set _Z27flag_heads_and_tails_kernelI12hip_bfloat16iN10test_utils7greaterELj37ELj1EEvPT_PxS5_.num_named_barrier, 0
	.set _Z27flag_heads_and_tails_kernelI12hip_bfloat16iN10test_utils7greaterELj37ELj1EEvPT_PxS5_.private_seg_size, 0
	.set _Z27flag_heads_and_tails_kernelI12hip_bfloat16iN10test_utils7greaterELj37ELj1EEvPT_PxS5_.uses_vcc, 1
	.set _Z27flag_heads_and_tails_kernelI12hip_bfloat16iN10test_utils7greaterELj37ELj1EEvPT_PxS5_.uses_flat_scratch, 0
	.set _Z27flag_heads_and_tails_kernelI12hip_bfloat16iN10test_utils7greaterELj37ELj1EEvPT_PxS5_.has_dyn_sized_stack, 0
	.set _Z27flag_heads_and_tails_kernelI12hip_bfloat16iN10test_utils7greaterELj37ELj1EEvPT_PxS5_.has_recursion, 0
	.set _Z27flag_heads_and_tails_kernelI12hip_bfloat16iN10test_utils7greaterELj37ELj1EEvPT_PxS5_.has_indirect_call, 0
	.section	.AMDGPU.csdata,"",@progbits
; Kernel info:
; codeLenInByte = 888
; TotalNumSgprs: 16
; NumVgprs: 6
; ScratchSize: 0
; MemoryBound: 0
; FloatMode: 240
; IeeeMode: 1
; LDSByteSize: 148 bytes/workgroup (compile time only)
; SGPRBlocks: 0
; VGPRBlocks: 0
; NumSGPRsForWavesPerEU: 16
; NumVGPRsForWavesPerEU: 6
; Occupancy: 16
; WaveLimiterHint : 0
; COMPUTE_PGM_RSRC2:SCRATCH_EN: 0
; COMPUTE_PGM_RSRC2:USER_SGPR: 6
; COMPUTE_PGM_RSRC2:TRAP_HANDLER: 0
; COMPUTE_PGM_RSRC2:TGID_X_EN: 1
; COMPUTE_PGM_RSRC2:TGID_Y_EN: 0
; COMPUTE_PGM_RSRC2:TGID_Z_EN: 0
; COMPUTE_PGM_RSRC2:TIDIG_COMP_CNT: 0
	.section	.text._Z27flag_heads_and_tails_kernelI6__halfiN10test_utils7greaterELj37ELj1EEvPT_PxS5_,"axG",@progbits,_Z27flag_heads_and_tails_kernelI6__halfiN10test_utils7greaterELj37ELj1EEvPT_PxS5_,comdat
	.protected	_Z27flag_heads_and_tails_kernelI6__halfiN10test_utils7greaterELj37ELj1EEvPT_PxS5_ ; -- Begin function _Z27flag_heads_and_tails_kernelI6__halfiN10test_utils7greaterELj37ELj1EEvPT_PxS5_
	.globl	_Z27flag_heads_and_tails_kernelI6__halfiN10test_utils7greaterELj37ELj1EEvPT_PxS5_
	.p2align	8
	.type	_Z27flag_heads_and_tails_kernelI6__halfiN10test_utils7greaterELj37ELj1EEvPT_PxS5_,@function
_Z27flag_heads_and_tails_kernelI6__halfiN10test_utils7greaterELj37ELj1EEvPT_PxS5_: ; @_Z27flag_heads_and_tails_kernelI6__halfiN10test_utils7greaterELj37ELj1EEvPT_PxS5_
; %bb.0:
	s_clause 0x1
	s_load_dwordx4 s[8:11], s[4:5], 0x0
	s_load_dwordx2 s[2:3], s[4:5], 0x10
	s_mul_i32 s12, s6, 37
	s_mov_b32 s13, 0
	v_lshlrev_b32_e32 v3, 1, v0
	s_lshl_b64 s[0:1], s[12:13], 1
	s_waitcnt lgkmcnt(0)
	s_add_u32 s0, s8, s0
	s_addc_u32 s1, s9, s1
	global_load_ushort v2, v3, s[0:1]
	s_and_b32 s1, s6, 3
	s_cmp_lt_i32 s1, 2
	s_cbranch_scc1 .LBB62_8
; %bb.1:
	s_cmp_gt_i32 s1, 2
	s_cbranch_scc0 .LBB62_9
; %bb.2:
	v_mov_b32_e32 v1, 1
	s_mov_b32 s0, exec_lo
	s_waitcnt vmcnt(0)
	ds_write_b16 v3, v2
	s_waitcnt lgkmcnt(0)
	s_barrier
	buffer_gl0_inv
	v_cmpx_ne_u32_e32 0, v0
	s_cbranch_execz .LBB62_4
; %bb.3:
	v_add_nc_u32_e32 v1, -2, v3
	ds_read_u16 v1, v1
	s_waitcnt lgkmcnt(0)
	v_cmp_gt_f16_e32 vcc_lo, v1, v2
	v_cndmask_b32_e64 v1, 0, 1, vcc_lo
.LBB62_4:
	s_or_b32 exec_lo, exec_lo, s0
	s_mov_b32 s4, -1
	s_mov_b32 s0, exec_lo
	ds_write_b16 v3, v2 offset:74
	s_waitcnt lgkmcnt(0)
	s_barrier
	buffer_gl0_inv
	v_cmpx_ne_u32_e32 36, v0
	s_cbranch_execz .LBB62_6
; %bb.5:
	ds_read_u16 v4, v3 offset:76
	s_waitcnt lgkmcnt(0)
	v_cmp_lt_f16_e32 vcc_lo, v4, v2
	s_orn2_b32 s4, vcc_lo, exec_lo
.LBB62_6:
	s_or_b32 exec_lo, exec_lo, s0
.LBB62_7:
	s_cbranch_execz .LBB62_15
	s_branch .LBB62_27
.LBB62_8:
                                        ; implicit-def: $sgpr4
                                        ; implicit-def: $vgpr1
	s_branch .LBB62_15
.LBB62_9:
                                        ; implicit-def: $sgpr4
                                        ; implicit-def: $vgpr1
	s_cbranch_execz .LBB62_7
; %bb.10:
	s_add_i32 s4, s12, -1
	s_mov_b32 s5, 0
	v_mov_b32_e32 v1, 0
	s_lshl_b64 s[4:5], s[4:5], 1
	s_mov_b32 s0, exec_lo
	s_add_u32 s4, s8, s4
	s_addc_u32 s5, s9, s5
	s_waitcnt vmcnt(0)
	ds_write_b16 v3, v2
	global_load_ushort v1, v1, s[4:5]
	s_mov_b32 s4, -1
	s_waitcnt vmcnt(0) lgkmcnt(0)
	s_barrier
	buffer_gl0_inv
	v_cmpx_ne_u32_e32 0, v0
; %bb.11:
	v_add_nc_u32_e32 v1, -2, v3
	ds_read_u16 v1, v1
; %bb.12:
	s_or_b32 exec_lo, exec_lo, s0
	s_mov_b32 s5, exec_lo
	s_waitcnt lgkmcnt(0)
	v_cmp_gt_f16_e32 vcc_lo, v1, v2
	ds_write_b16 v3, v2 offset:74
	s_waitcnt lgkmcnt(0)
	s_barrier
	buffer_gl0_inv
	v_cmpx_ne_u32_e32 36, v0
	s_cbranch_execz .LBB62_14
; %bb.13:
	ds_read_u16 v1, v3 offset:76
	s_waitcnt lgkmcnt(0)
	v_cmp_lt_f16_e64 s0, v1, v2
	s_orn2_b32 s4, s0, exec_lo
.LBB62_14:
	s_or_b32 exec_lo, exec_lo, s5
	v_cndmask_b32_e64 v1, 0, 1, vcc_lo
	s_cbranch_execnz .LBB62_27
.LBB62_15:
	s_cmp_eq_u32 s1, 1
	v_cmp_ne_u32_e32 vcc_lo, 0, v0
	s_cbranch_scc1 .LBB62_21
; %bb.16:
	s_add_i32 s0, s12, 37
	s_mov_b32 s1, 0
	v_mov_b32_e32 v1, 0
	s_lshl_b64 s[0:1], s[0:1], 1
	s_waitcnt vmcnt(0)
	ds_write_b16 v3, v2
	s_add_u32 s0, s8, s0
	s_addc_u32 s1, s9, s1
	global_load_ushort v4, v1, s[0:1]
	v_mov_b32_e32 v1, 1
	s_waitcnt vmcnt(0) lgkmcnt(0)
	s_barrier
	buffer_gl0_inv
	s_and_saveexec_b32 s0, vcc_lo
	s_cbranch_execz .LBB62_18
; %bb.17:
	v_add_nc_u32_e32 v1, -2, v3
	ds_read_u16 v1, v1
	s_waitcnt lgkmcnt(0)
	v_cmp_gt_f16_e32 vcc_lo, v1, v2
	v_cndmask_b32_e64 v1, 0, 1, vcc_lo
.LBB62_18:
	s_or_b32 exec_lo, exec_lo, s0
	s_mov_b32 s0, exec_lo
	ds_write_b16 v3, v2 offset:74
	s_waitcnt lgkmcnt(0)
	s_barrier
	buffer_gl0_inv
	v_cmpx_ne_u32_e32 36, v0
; %bb.19:
	ds_read_u16 v4, v3 offset:76
; %bb.20:
	s_or_b32 exec_lo, exec_lo, s0
	s_waitcnt lgkmcnt(0)
	v_cmp_lt_f16_e64 s4, v4, v2
	s_branch .LBB62_27
.LBB62_21:
                                        ; implicit-def: $sgpr4
                                        ; implicit-def: $vgpr1
	s_cbranch_execz .LBB62_27
; %bb.22:
	s_add_i32 s0, s12, -1
	s_mov_b32 s1, 0
	v_mov_b32_e32 v4, 0
	s_lshl_b64 s[4:5], s[0:1], 1
	s_add_u32 s4, s8, s4
	s_addc_u32 s5, s9, s5
	s_add_i32 s0, s12, 37
	s_lshl_b64 s[0:1], s[0:1], 1
	s_add_u32 s0, s8, s0
	s_addc_u32 s1, s9, s1
	s_clause 0x1
	global_load_ushort v1, v4, s[4:5]
	global_load_ushort v4, v4, s[0:1]
	s_mov_b32 s0, exec_lo
	s_waitcnt vmcnt(2)
	ds_write_b16 v3, v2
	s_waitcnt vmcnt(0) lgkmcnt(0)
	s_barrier
	buffer_gl0_inv
	v_cmpx_ne_u32_e32 0, v0
; %bb.23:
	v_add_nc_u32_e32 v1, -2, v3
	ds_read_u16 v1, v1
; %bb.24:
	s_or_b32 exec_lo, exec_lo, s0
	s_mov_b32 s0, exec_lo
	ds_write_b16 v3, v2 offset:74
	s_waitcnt lgkmcnt(0)
	s_barrier
	buffer_gl0_inv
	v_cmpx_ne_u32_e32 36, v0
; %bb.25:
	ds_read_u16 v4, v3 offset:76
; %bb.26:
	s_or_b32 exec_lo, exec_lo, s0
	v_cmp_gt_f16_e32 vcc_lo, v1, v2
	s_waitcnt lgkmcnt(0)
	v_cmp_lt_f16_e64 s4, v4, v2
	v_cndmask_b32_e64 v1, 0, 1, vcc_lo
.LBB62_27:
	s_lshl_b64 s[0:1], s[12:13], 3
	s_mov_b32 s5, 0
	v_lshlrev_b32_e32 v0, 3, v0
	s_waitcnt vmcnt(0)
	v_mov_b32_e32 v2, 0
	s_add_u32 s6, s10, s0
	v_cndmask_b32_e64 v3, 0, 1, s4
	v_mov_b32_e32 v4, s5
	s_addc_u32 s7, s11, s1
	s_add_u32 s0, s2, s0
	s_addc_u32 s1, s3, s1
	global_store_dwordx2 v0, v[1:2], s[6:7]
	global_store_dwordx2 v0, v[3:4], s[0:1]
	s_endpgm
	.section	.rodata,"a",@progbits
	.p2align	6, 0x0
	.amdhsa_kernel _Z27flag_heads_and_tails_kernelI6__halfiN10test_utils7greaterELj37ELj1EEvPT_PxS5_
		.amdhsa_group_segment_fixed_size 148
		.amdhsa_private_segment_fixed_size 0
		.amdhsa_kernarg_size 24
		.amdhsa_user_sgpr_count 6
		.amdhsa_user_sgpr_private_segment_buffer 1
		.amdhsa_user_sgpr_dispatch_ptr 0
		.amdhsa_user_sgpr_queue_ptr 0
		.amdhsa_user_sgpr_kernarg_segment_ptr 1
		.amdhsa_user_sgpr_dispatch_id 0
		.amdhsa_user_sgpr_flat_scratch_init 0
		.amdhsa_user_sgpr_private_segment_size 0
		.amdhsa_wavefront_size32 1
		.amdhsa_uses_dynamic_stack 0
		.amdhsa_system_sgpr_private_segment_wavefront_offset 0
		.amdhsa_system_sgpr_workgroup_id_x 1
		.amdhsa_system_sgpr_workgroup_id_y 0
		.amdhsa_system_sgpr_workgroup_id_z 0
		.amdhsa_system_sgpr_workgroup_info 0
		.amdhsa_system_vgpr_workitem_id 0
		.amdhsa_next_free_vgpr 5
		.amdhsa_next_free_sgpr 14
		.amdhsa_reserve_vcc 1
		.amdhsa_reserve_flat_scratch 0
		.amdhsa_float_round_mode_32 0
		.amdhsa_float_round_mode_16_64 0
		.amdhsa_float_denorm_mode_32 3
		.amdhsa_float_denorm_mode_16_64 3
		.amdhsa_dx10_clamp 1
		.amdhsa_ieee_mode 1
		.amdhsa_fp16_overflow 0
		.amdhsa_workgroup_processor_mode 1
		.amdhsa_memory_ordered 1
		.amdhsa_forward_progress 1
		.amdhsa_shared_vgpr_count 0
		.amdhsa_exception_fp_ieee_invalid_op 0
		.amdhsa_exception_fp_denorm_src 0
		.amdhsa_exception_fp_ieee_div_zero 0
		.amdhsa_exception_fp_ieee_overflow 0
		.amdhsa_exception_fp_ieee_underflow 0
		.amdhsa_exception_fp_ieee_inexact 0
		.amdhsa_exception_int_div_zero 0
	.end_amdhsa_kernel
	.section	.text._Z27flag_heads_and_tails_kernelI6__halfiN10test_utils7greaterELj37ELj1EEvPT_PxS5_,"axG",@progbits,_Z27flag_heads_and_tails_kernelI6__halfiN10test_utils7greaterELj37ELj1EEvPT_PxS5_,comdat
.Lfunc_end62:
	.size	_Z27flag_heads_and_tails_kernelI6__halfiN10test_utils7greaterELj37ELj1EEvPT_PxS5_, .Lfunc_end62-_Z27flag_heads_and_tails_kernelI6__halfiN10test_utils7greaterELj37ELj1EEvPT_PxS5_
                                        ; -- End function
	.set _Z27flag_heads_and_tails_kernelI6__halfiN10test_utils7greaterELj37ELj1EEvPT_PxS5_.num_vgpr, 5
	.set _Z27flag_heads_and_tails_kernelI6__halfiN10test_utils7greaterELj37ELj1EEvPT_PxS5_.num_agpr, 0
	.set _Z27flag_heads_and_tails_kernelI6__halfiN10test_utils7greaterELj37ELj1EEvPT_PxS5_.numbered_sgpr, 14
	.set _Z27flag_heads_and_tails_kernelI6__halfiN10test_utils7greaterELj37ELj1EEvPT_PxS5_.num_named_barrier, 0
	.set _Z27flag_heads_and_tails_kernelI6__halfiN10test_utils7greaterELj37ELj1EEvPT_PxS5_.private_seg_size, 0
	.set _Z27flag_heads_and_tails_kernelI6__halfiN10test_utils7greaterELj37ELj1EEvPT_PxS5_.uses_vcc, 1
	.set _Z27flag_heads_and_tails_kernelI6__halfiN10test_utils7greaterELj37ELj1EEvPT_PxS5_.uses_flat_scratch, 0
	.set _Z27flag_heads_and_tails_kernelI6__halfiN10test_utils7greaterELj37ELj1EEvPT_PxS5_.has_dyn_sized_stack, 0
	.set _Z27flag_heads_and_tails_kernelI6__halfiN10test_utils7greaterELj37ELj1EEvPT_PxS5_.has_recursion, 0
	.set _Z27flag_heads_and_tails_kernelI6__halfiN10test_utils7greaterELj37ELj1EEvPT_PxS5_.has_indirect_call, 0
	.section	.AMDGPU.csdata,"",@progbits
; Kernel info:
; codeLenInByte = 832
; TotalNumSgprs: 16
; NumVgprs: 5
; ScratchSize: 0
; MemoryBound: 0
; FloatMode: 240
; IeeeMode: 1
; LDSByteSize: 148 bytes/workgroup (compile time only)
; SGPRBlocks: 0
; VGPRBlocks: 0
; NumSGPRsForWavesPerEU: 16
; NumVGPRsForWavesPerEU: 5
; Occupancy: 16
; WaveLimiterHint : 0
; COMPUTE_PGM_RSRC2:SCRATCH_EN: 0
; COMPUTE_PGM_RSRC2:USER_SGPR: 6
; COMPUTE_PGM_RSRC2:TRAP_HANDLER: 0
; COMPUTE_PGM_RSRC2:TGID_X_EN: 1
; COMPUTE_PGM_RSRC2:TGID_Y_EN: 0
; COMPUTE_PGM_RSRC2:TGID_Z_EN: 0
; COMPUTE_PGM_RSRC2:TIDIG_COMP_CNT: 0
	.section	.text._Z27flag_heads_and_tails_kernelIfi15custom_flag_op1IfELj37ELj1EEvPT_PxS4_,"axG",@progbits,_Z27flag_heads_and_tails_kernelIfi15custom_flag_op1IfELj37ELj1EEvPT_PxS4_,comdat
	.protected	_Z27flag_heads_and_tails_kernelIfi15custom_flag_op1IfELj37ELj1EEvPT_PxS4_ ; -- Begin function _Z27flag_heads_and_tails_kernelIfi15custom_flag_op1IfELj37ELj1EEvPT_PxS4_
	.globl	_Z27flag_heads_and_tails_kernelIfi15custom_flag_op1IfELj37ELj1EEvPT_PxS4_
	.p2align	8
	.type	_Z27flag_heads_and_tails_kernelIfi15custom_flag_op1IfELj37ELj1EEvPT_PxS4_,@function
_Z27flag_heads_and_tails_kernelIfi15custom_flag_op1IfELj37ELj1EEvPT_PxS4_: ; @_Z27flag_heads_and_tails_kernelIfi15custom_flag_op1IfELj37ELj1EEvPT_PxS4_
; %bb.0:
	s_clause 0x1
	s_load_dwordx4 s[8:11], s[4:5], 0x0
	s_load_dwordx2 s[2:3], s[4:5], 0x10
	s_mul_i32 s12, s6, 37
	s_mov_b32 s13, 0
	v_lshlrev_b32_e32 v3, 2, v0
	s_lshl_b64 s[0:1], s[12:13], 2
	s_waitcnt lgkmcnt(0)
	s_add_u32 s0, s8, s0
	s_addc_u32 s1, s9, s1
	global_load_dword v2, v3, s[0:1]
	s_and_b32 s1, s6, 3
	s_cmp_lt_i32 s1, 2
	s_cbranch_scc1 .LBB63_8
; %bb.1:
	s_cmp_gt_i32 s1, 2
	s_cbranch_scc0 .LBB63_9
; %bb.2:
	v_mov_b32_e32 v1, 1
	s_mov_b32 s0, exec_lo
	s_waitcnt vmcnt(0)
	ds_write_b32 v3, v2
	s_waitcnt lgkmcnt(0)
	s_barrier
	buffer_gl0_inv
	v_cmpx_ne_u32_e32 0, v0
	s_cbranch_execz .LBB63_4
; %bb.3:
	v_add_nc_u32_e32 v1, -4, v3
	ds_read_b32 v1, v1
	s_waitcnt lgkmcnt(0)
	v_cmp_eq_f32_e32 vcc_lo, v1, v2
	v_cndmask_b32_e64 v1, 0, 1, vcc_lo
.LBB63_4:
	s_or_b32 exec_lo, exec_lo, s0
	s_mov_b32 s4, -1
	s_mov_b32 s0, exec_lo
	ds_write_b32 v3, v2 offset:148
	s_waitcnt lgkmcnt(0)
	s_barrier
	buffer_gl0_inv
	v_cmpx_ne_u32_e32 36, v0
	s_cbranch_execz .LBB63_6
; %bb.5:
	ds_read_b32 v4, v3 offset:152
	s_waitcnt lgkmcnt(0)
	v_cmp_eq_f32_e32 vcc_lo, v2, v4
	s_orn2_b32 s4, vcc_lo, exec_lo
.LBB63_6:
	s_or_b32 exec_lo, exec_lo, s0
.LBB63_7:
	s_cbranch_execz .LBB63_15
	s_branch .LBB63_27
.LBB63_8:
                                        ; implicit-def: $sgpr4
                                        ; implicit-def: $vgpr1
	s_branch .LBB63_15
.LBB63_9:
                                        ; implicit-def: $sgpr4
                                        ; implicit-def: $vgpr1
	s_cbranch_execz .LBB63_7
; %bb.10:
	s_add_i32 s4, s12, -1
	s_mov_b32 s5, 0
	s_waitcnt vmcnt(0)
	ds_write_b32 v3, v2
	s_lshl_b64 s[4:5], s[4:5], 2
	s_add_u32 s4, s8, s4
	s_addc_u32 s5, s9, s5
	s_load_dword s0, s[4:5], 0x0
	s_mov_b32 s4, -1
	s_waitcnt lgkmcnt(0)
	s_barrier
	buffer_gl0_inv
	v_mov_b32_e32 v1, s0
	s_mov_b32 s0, exec_lo
	v_cmpx_ne_u32_e32 0, v0
; %bb.11:
	v_add_nc_u32_e32 v1, -4, v3
	ds_read_b32 v1, v1
; %bb.12:
	s_or_b32 exec_lo, exec_lo, s0
	s_mov_b32 s5, exec_lo
	s_waitcnt lgkmcnt(0)
	v_cmp_eq_f32_e32 vcc_lo, v1, v2
	ds_write_b32 v3, v2 offset:148
	s_waitcnt lgkmcnt(0)
	s_barrier
	buffer_gl0_inv
	v_cmpx_ne_u32_e32 36, v0
	s_cbranch_execz .LBB63_14
; %bb.13:
	ds_read_b32 v1, v3 offset:152
	s_waitcnt lgkmcnt(0)
	v_cmp_eq_f32_e64 s0, v2, v1
	s_orn2_b32 s4, s0, exec_lo
.LBB63_14:
	s_or_b32 exec_lo, exec_lo, s5
	v_cndmask_b32_e64 v1, 0, 1, vcc_lo
	s_cbranch_execnz .LBB63_27
.LBB63_15:
	s_cmp_eq_u32 s1, 1
	v_cmp_ne_u32_e32 vcc_lo, 0, v0
	s_cbranch_scc1 .LBB63_21
; %bb.16:
	s_add_i32 s0, s12, 37
	s_mov_b32 s1, 0
	v_mov_b32_e32 v1, 1
	s_lshl_b64 s[0:1], s[0:1], 2
	s_waitcnt vmcnt(0)
	ds_write_b32 v3, v2
	s_add_u32 s0, s8, s0
	s_addc_u32 s1, s9, s1
	s_load_dword s0, s[0:1], 0x0
	s_waitcnt lgkmcnt(0)
	s_barrier
	buffer_gl0_inv
	s_and_saveexec_b32 s1, vcc_lo
	s_cbranch_execz .LBB63_18
; %bb.17:
	v_add_nc_u32_e32 v1, -4, v3
	ds_read_b32 v1, v1
	s_waitcnt lgkmcnt(0)
	v_cmp_eq_f32_e32 vcc_lo, v1, v2
	v_cndmask_b32_e64 v1, 0, 1, vcc_lo
.LBB63_18:
	s_or_b32 exec_lo, exec_lo, s1
	v_mov_b32_e32 v4, s0
	s_mov_b32 s0, exec_lo
	ds_write_b32 v3, v2 offset:148
	s_waitcnt lgkmcnt(0)
	s_barrier
	buffer_gl0_inv
	v_cmpx_ne_u32_e32 36, v0
; %bb.19:
	ds_read_b32 v4, v3 offset:152
; %bb.20:
	s_or_b32 exec_lo, exec_lo, s0
	s_waitcnt lgkmcnt(0)
	v_cmp_eq_f32_e64 s4, v2, v4
	s_branch .LBB63_27
.LBB63_21:
                                        ; implicit-def: $sgpr4
                                        ; implicit-def: $vgpr1
	s_cbranch_execz .LBB63_27
; %bb.22:
	s_add_i32 s0, s12, -1
	s_mov_b32 s1, 0
	s_waitcnt vmcnt(0)
	ds_write_b32 v3, v2
	s_lshl_b64 s[4:5], s[0:1], 2
	s_add_u32 s4, s8, s4
	s_addc_u32 s5, s9, s5
	s_add_i32 s0, s12, 37
	s_load_dword s4, s[4:5], 0x0
	s_lshl_b64 s[0:1], s[0:1], 2
	s_add_u32 s0, s8, s0
	s_addc_u32 s1, s9, s1
	s_load_dword s0, s[0:1], 0x0
	s_mov_b32 s1, exec_lo
	s_waitcnt lgkmcnt(0)
	s_barrier
	buffer_gl0_inv
	v_mov_b32_e32 v1, s4
	v_cmpx_ne_u32_e32 0, v0
; %bb.23:
	v_add_nc_u32_e32 v1, -4, v3
	ds_read_b32 v1, v1
; %bb.24:
	s_or_b32 exec_lo, exec_lo, s1
	v_mov_b32_e32 v4, s0
	s_mov_b32 s0, exec_lo
	ds_write_b32 v3, v2 offset:148
	s_waitcnt lgkmcnt(0)
	s_barrier
	buffer_gl0_inv
	v_cmpx_ne_u32_e32 36, v0
; %bb.25:
	ds_read_b32 v4, v3 offset:152
; %bb.26:
	s_or_b32 exec_lo, exec_lo, s0
	v_cmp_eq_f32_e32 vcc_lo, v1, v2
	s_waitcnt lgkmcnt(0)
	v_cmp_eq_f32_e64 s4, v2, v4
	v_cndmask_b32_e64 v1, 0, 1, vcc_lo
.LBB63_27:
	s_lshl_b64 s[0:1], s[12:13], 3
	s_mov_b32 s5, 0
	v_lshlrev_b32_e32 v0, 3, v0
	s_waitcnt vmcnt(0)
	v_mov_b32_e32 v2, 0
	s_add_u32 s6, s10, s0
	v_cndmask_b32_e64 v3, 0, 1, s4
	v_mov_b32_e32 v4, s5
	s_addc_u32 s7, s11, s1
	s_add_u32 s0, s2, s0
	s_addc_u32 s1, s3, s1
	global_store_dwordx2 v0, v[1:2], s[6:7]
	global_store_dwordx2 v0, v[3:4], s[0:1]
	s_endpgm
	.section	.rodata,"a",@progbits
	.p2align	6, 0x0
	.amdhsa_kernel _Z27flag_heads_and_tails_kernelIfi15custom_flag_op1IfELj37ELj1EEvPT_PxS4_
		.amdhsa_group_segment_fixed_size 296
		.amdhsa_private_segment_fixed_size 0
		.amdhsa_kernarg_size 24
		.amdhsa_user_sgpr_count 6
		.amdhsa_user_sgpr_private_segment_buffer 1
		.amdhsa_user_sgpr_dispatch_ptr 0
		.amdhsa_user_sgpr_queue_ptr 0
		.amdhsa_user_sgpr_kernarg_segment_ptr 1
		.amdhsa_user_sgpr_dispatch_id 0
		.amdhsa_user_sgpr_flat_scratch_init 0
		.amdhsa_user_sgpr_private_segment_size 0
		.amdhsa_wavefront_size32 1
		.amdhsa_uses_dynamic_stack 0
		.amdhsa_system_sgpr_private_segment_wavefront_offset 0
		.amdhsa_system_sgpr_workgroup_id_x 1
		.amdhsa_system_sgpr_workgroup_id_y 0
		.amdhsa_system_sgpr_workgroup_id_z 0
		.amdhsa_system_sgpr_workgroup_info 0
		.amdhsa_system_vgpr_workitem_id 0
		.amdhsa_next_free_vgpr 5
		.amdhsa_next_free_sgpr 14
		.amdhsa_reserve_vcc 1
		.amdhsa_reserve_flat_scratch 0
		.amdhsa_float_round_mode_32 0
		.amdhsa_float_round_mode_16_64 0
		.amdhsa_float_denorm_mode_32 3
		.amdhsa_float_denorm_mode_16_64 3
		.amdhsa_dx10_clamp 1
		.amdhsa_ieee_mode 1
		.amdhsa_fp16_overflow 0
		.amdhsa_workgroup_processor_mode 1
		.amdhsa_memory_ordered 1
		.amdhsa_forward_progress 1
		.amdhsa_shared_vgpr_count 0
		.amdhsa_exception_fp_ieee_invalid_op 0
		.amdhsa_exception_fp_denorm_src 0
		.amdhsa_exception_fp_ieee_div_zero 0
		.amdhsa_exception_fp_ieee_overflow 0
		.amdhsa_exception_fp_ieee_underflow 0
		.amdhsa_exception_fp_ieee_inexact 0
		.amdhsa_exception_int_div_zero 0
	.end_amdhsa_kernel
	.section	.text._Z27flag_heads_and_tails_kernelIfi15custom_flag_op1IfELj37ELj1EEvPT_PxS4_,"axG",@progbits,_Z27flag_heads_and_tails_kernelIfi15custom_flag_op1IfELj37ELj1EEvPT_PxS4_,comdat
.Lfunc_end63:
	.size	_Z27flag_heads_and_tails_kernelIfi15custom_flag_op1IfELj37ELj1EEvPT_PxS4_, .Lfunc_end63-_Z27flag_heads_and_tails_kernelIfi15custom_flag_op1IfELj37ELj1EEvPT_PxS4_
                                        ; -- End function
	.set _Z27flag_heads_and_tails_kernelIfi15custom_flag_op1IfELj37ELj1EEvPT_PxS4_.num_vgpr, 5
	.set _Z27flag_heads_and_tails_kernelIfi15custom_flag_op1IfELj37ELj1EEvPT_PxS4_.num_agpr, 0
	.set _Z27flag_heads_and_tails_kernelIfi15custom_flag_op1IfELj37ELj1EEvPT_PxS4_.numbered_sgpr, 14
	.set _Z27flag_heads_and_tails_kernelIfi15custom_flag_op1IfELj37ELj1EEvPT_PxS4_.num_named_barrier, 0
	.set _Z27flag_heads_and_tails_kernelIfi15custom_flag_op1IfELj37ELj1EEvPT_PxS4_.private_seg_size, 0
	.set _Z27flag_heads_and_tails_kernelIfi15custom_flag_op1IfELj37ELj1EEvPT_PxS4_.uses_vcc, 1
	.set _Z27flag_heads_and_tails_kernelIfi15custom_flag_op1IfELj37ELj1EEvPT_PxS4_.uses_flat_scratch, 0
	.set _Z27flag_heads_and_tails_kernelIfi15custom_flag_op1IfELj37ELj1EEvPT_PxS4_.has_dyn_sized_stack, 0
	.set _Z27flag_heads_and_tails_kernelIfi15custom_flag_op1IfELj37ELj1EEvPT_PxS4_.has_recursion, 0
	.set _Z27flag_heads_and_tails_kernelIfi15custom_flag_op1IfELj37ELj1EEvPT_PxS4_.has_indirect_call, 0
	.section	.AMDGPU.csdata,"",@progbits
; Kernel info:
; codeLenInByte = 832
; TotalNumSgprs: 16
; NumVgprs: 5
; ScratchSize: 0
; MemoryBound: 0
; FloatMode: 240
; IeeeMode: 1
; LDSByteSize: 296 bytes/workgroup (compile time only)
; SGPRBlocks: 0
; VGPRBlocks: 0
; NumSGPRsForWavesPerEU: 16
; NumVGPRsForWavesPerEU: 5
; Occupancy: 16
; WaveLimiterHint : 0
; COMPUTE_PGM_RSRC2:SCRATCH_EN: 0
; COMPUTE_PGM_RSRC2:USER_SGPR: 6
; COMPUTE_PGM_RSRC2:TRAP_HANDLER: 0
; COMPUTE_PGM_RSRC2:TGID_X_EN: 1
; COMPUTE_PGM_RSRC2:TGID_Y_EN: 0
; COMPUTE_PGM_RSRC2:TGID_Z_EN: 0
; COMPUTE_PGM_RSRC2:TIDIG_COMP_CNT: 0
	.section	.text._Z27flag_heads_and_tails_kernelIdjN10test_utils7greaterELj65ELj1EEvPT_PxS4_,"axG",@progbits,_Z27flag_heads_and_tails_kernelIdjN10test_utils7greaterELj65ELj1EEvPT_PxS4_,comdat
	.protected	_Z27flag_heads_and_tails_kernelIdjN10test_utils7greaterELj65ELj1EEvPT_PxS4_ ; -- Begin function _Z27flag_heads_and_tails_kernelIdjN10test_utils7greaterELj65ELj1EEvPT_PxS4_
	.globl	_Z27flag_heads_and_tails_kernelIdjN10test_utils7greaterELj65ELj1EEvPT_PxS4_
	.p2align	8
	.type	_Z27flag_heads_and_tails_kernelIdjN10test_utils7greaterELj65ELj1EEvPT_PxS4_,@function
_Z27flag_heads_and_tails_kernelIdjN10test_utils7greaterELj65ELj1EEvPT_PxS4_: ; @_Z27flag_heads_and_tails_kernelIdjN10test_utils7greaterELj65ELj1EEvPT_PxS4_
; %bb.0:
	s_load_dwordx4 s[8:11], s[4:5], 0x0
	s_mul_i32 s12, s6, 0x41
	s_mov_b32 s13, 0
	v_lshlrev_b32_e32 v7, 3, v0
	s_lshl_b64 s[2:3], s[12:13], 3
	s_load_dwordx2 s[4:5], s[4:5], 0x10
	s_waitcnt lgkmcnt(0)
	s_add_u32 s0, s8, s2
	s_addc_u32 s1, s9, s3
	global_load_dwordx2 v[1:2], v7, s[0:1]
	s_and_b32 s1, s6, 3
	s_cmp_lt_i32 s1, 2
	s_cbranch_scc1 .LBB64_8
; %bb.1:
	s_cmp_gt_i32 s1, 2
	s_cbranch_scc0 .LBB64_9
; %bb.2:
	v_mov_b32_e32 v3, 1
	s_mov_b32 s0, exec_lo
	s_waitcnt vmcnt(0)
	ds_write_b64 v7, v[1:2]
	s_waitcnt lgkmcnt(0)
	s_barrier
	buffer_gl0_inv
	v_cmpx_ne_u32_e32 0, v0
	s_cbranch_execz .LBB64_4
; %bb.3:
	v_add_nc_u32_e32 v3, -8, v7
	ds_read_b64 v[3:4], v3
	s_waitcnt lgkmcnt(0)
	v_cmp_gt_f64_e32 vcc_lo, v[3:4], v[1:2]
	v_cndmask_b32_e64 v3, 0, 1, vcc_lo
.LBB64_4:
	s_or_b32 exec_lo, exec_lo, s0
	s_mov_b32 s6, -1
	s_mov_b32 s0, exec_lo
	ds_write_b64 v7, v[1:2] offset:520
	s_waitcnt lgkmcnt(0)
	s_barrier
	buffer_gl0_inv
	v_cmpx_ne_u32_e32 64, v0
	s_cbranch_execz .LBB64_6
; %bb.5:
	ds_read_b64 v[4:5], v7 offset:528
	s_waitcnt lgkmcnt(0)
	v_cmp_gt_f64_e32 vcc_lo, v[1:2], v[4:5]
	s_orn2_b32 s6, vcc_lo, exec_lo
.LBB64_6:
	s_or_b32 exec_lo, exec_lo, s0
.LBB64_7:
	s_cbranch_execz .LBB64_15
	s_branch .LBB64_27
.LBB64_8:
                                        ; implicit-def: $sgpr6
                                        ; implicit-def: $vgpr3
	s_branch .LBB64_15
.LBB64_9:
                                        ; implicit-def: $sgpr6
                                        ; implicit-def: $vgpr3
	s_cbranch_execz .LBB64_7
; %bb.10:
	s_add_i32 s6, s12, -1
	s_mov_b32 s7, 0
	s_mov_b32 s0, exec_lo
	s_lshl_b64 s[6:7], s[6:7], 3
	s_waitcnt vmcnt(0)
	ds_write_b64 v7, v[1:2]
	s_add_u32 s6, s8, s6
	s_addc_u32 s7, s9, s7
	s_load_dwordx2 s[14:15], s[6:7], 0x0
	s_mov_b32 s6, -1
	s_waitcnt lgkmcnt(0)
	s_barrier
	buffer_gl0_inv
	v_mov_b32_e32 v3, s14
	v_mov_b32_e32 v4, s15
	v_cmpx_ne_u32_e32 0, v0
; %bb.11:
	v_add_nc_u32_e32 v3, -8, v7
	ds_read_b64 v[3:4], v3
; %bb.12:
	s_or_b32 exec_lo, exec_lo, s0
	s_mov_b32 s7, exec_lo
	s_waitcnt lgkmcnt(0)
	v_cmp_gt_f64_e32 vcc_lo, v[3:4], v[1:2]
	ds_write_b64 v7, v[1:2] offset:520
	s_waitcnt lgkmcnt(0)
	s_barrier
	buffer_gl0_inv
	v_cmpx_ne_u32_e32 64, v0
	s_cbranch_execz .LBB64_14
; %bb.13:
	ds_read_b64 v[3:4], v7 offset:528
	s_waitcnt lgkmcnt(0)
	v_cmp_gt_f64_e64 s0, v[1:2], v[3:4]
	s_orn2_b32 s6, s0, exec_lo
.LBB64_14:
	s_or_b32 exec_lo, exec_lo, s7
	v_cndmask_b32_e64 v3, 0, 1, vcc_lo
	s_cbranch_execnz .LBB64_27
.LBB64_15:
	s_cmp_eq_u32 s1, 1
	v_cmp_ne_u32_e32 vcc_lo, 0, v0
	s_cbranch_scc1 .LBB64_21
; %bb.16:
	s_add_i32 s0, s12, 0x41
	s_mov_b32 s1, 0
	v_mov_b32_e32 v3, 1
	s_lshl_b64 s[0:1], s[0:1], 3
	s_waitcnt vmcnt(0)
	ds_write_b64 v7, v[1:2]
	s_add_u32 s0, s8, s0
	s_addc_u32 s1, s9, s1
	s_load_dwordx2 s[0:1], s[0:1], 0x0
	s_waitcnt lgkmcnt(0)
	s_barrier
	buffer_gl0_inv
	s_and_saveexec_b32 s6, vcc_lo
	s_cbranch_execz .LBB64_18
; %bb.17:
	v_add_nc_u32_e32 v3, -8, v7
	ds_read_b64 v[3:4], v3
	s_waitcnt lgkmcnt(0)
	v_cmp_gt_f64_e32 vcc_lo, v[3:4], v[1:2]
	v_cndmask_b32_e64 v3, 0, 1, vcc_lo
.LBB64_18:
	s_or_b32 exec_lo, exec_lo, s6
	v_mov_b32_e32 v5, s1
	v_mov_b32_e32 v4, s0
	s_mov_b32 s0, exec_lo
	ds_write_b64 v7, v[1:2] offset:520
	s_waitcnt lgkmcnt(0)
	s_barrier
	buffer_gl0_inv
	v_cmpx_ne_u32_e32 64, v0
; %bb.19:
	ds_read_b64 v[4:5], v7 offset:528
; %bb.20:
	s_or_b32 exec_lo, exec_lo, s0
	s_waitcnt lgkmcnt(0)
	v_cmp_gt_f64_e64 s6, v[1:2], v[4:5]
	s_branch .LBB64_27
.LBB64_21:
                                        ; implicit-def: $sgpr6
                                        ; implicit-def: $vgpr3
	s_cbranch_execz .LBB64_27
; %bb.22:
	s_add_i32 s0, s12, -1
	s_mov_b32 s1, 0
	s_waitcnt vmcnt(0)
	ds_write_b64 v7, v[1:2]
	s_lshl_b64 s[6:7], s[0:1], 3
	s_add_u32 s6, s8, s6
	s_addc_u32 s7, s9, s7
	s_add_i32 s0, s12, 0x41
	s_load_dwordx2 s[6:7], s[6:7], 0x0
	s_lshl_b64 s[0:1], s[0:1], 3
	s_add_u32 s0, s8, s0
	s_addc_u32 s1, s9, s1
	s_load_dwordx2 s[0:1], s[0:1], 0x0
	s_waitcnt lgkmcnt(0)
	s_barrier
	buffer_gl0_inv
	v_mov_b32_e32 v3, s6
	v_mov_b32_e32 v4, s7
	s_mov_b32 s6, exec_lo
	v_cmpx_ne_u32_e32 0, v0
; %bb.23:
	v_add_nc_u32_e32 v3, -8, v7
	ds_read_b64 v[3:4], v3
; %bb.24:
	s_or_b32 exec_lo, exec_lo, s6
	v_mov_b32_e32 v6, s1
	v_mov_b32_e32 v5, s0
	s_mov_b32 s0, exec_lo
	ds_write_b64 v7, v[1:2] offset:520
	s_waitcnt lgkmcnt(0)
	s_barrier
	buffer_gl0_inv
	v_cmpx_ne_u32_e32 64, v0
; %bb.25:
	ds_read_b64 v[5:6], v7 offset:528
; %bb.26:
	s_or_b32 exec_lo, exec_lo, s0
	v_cmp_gt_f64_e32 vcc_lo, v[3:4], v[1:2]
	s_waitcnt lgkmcnt(0)
	v_cmp_gt_f64_e64 s6, v[1:2], v[5:6]
	v_cndmask_b32_e64 v3, 0, 1, vcc_lo
.LBB64_27:
	s_mov_b32 s1, 0
	v_mov_b32_e32 v4, 0
	s_add_u32 s0, s10, s2
	v_cndmask_b32_e64 v0, 0, 1, s6
	s_waitcnt vmcnt(0)
	v_mov_b32_e32 v1, s1
	s_addc_u32 s1, s11, s3
	s_add_u32 s2, s4, s2
	s_addc_u32 s3, s5, s3
	global_store_dwordx2 v7, v[3:4], s[0:1]
	global_store_dwordx2 v7, v[0:1], s[2:3]
	s_endpgm
	.section	.rodata,"a",@progbits
	.p2align	6, 0x0
	.amdhsa_kernel _Z27flag_heads_and_tails_kernelIdjN10test_utils7greaterELj65ELj1EEvPT_PxS4_
		.amdhsa_group_segment_fixed_size 1040
		.amdhsa_private_segment_fixed_size 0
		.amdhsa_kernarg_size 24
		.amdhsa_user_sgpr_count 6
		.amdhsa_user_sgpr_private_segment_buffer 1
		.amdhsa_user_sgpr_dispatch_ptr 0
		.amdhsa_user_sgpr_queue_ptr 0
		.amdhsa_user_sgpr_kernarg_segment_ptr 1
		.amdhsa_user_sgpr_dispatch_id 0
		.amdhsa_user_sgpr_flat_scratch_init 0
		.amdhsa_user_sgpr_private_segment_size 0
		.amdhsa_wavefront_size32 1
		.amdhsa_uses_dynamic_stack 0
		.amdhsa_system_sgpr_private_segment_wavefront_offset 0
		.amdhsa_system_sgpr_workgroup_id_x 1
		.amdhsa_system_sgpr_workgroup_id_y 0
		.amdhsa_system_sgpr_workgroup_id_z 0
		.amdhsa_system_sgpr_workgroup_info 0
		.amdhsa_system_vgpr_workitem_id 0
		.amdhsa_next_free_vgpr 8
		.amdhsa_next_free_sgpr 16
		.amdhsa_reserve_vcc 1
		.amdhsa_reserve_flat_scratch 0
		.amdhsa_float_round_mode_32 0
		.amdhsa_float_round_mode_16_64 0
		.amdhsa_float_denorm_mode_32 3
		.amdhsa_float_denorm_mode_16_64 3
		.amdhsa_dx10_clamp 1
		.amdhsa_ieee_mode 1
		.amdhsa_fp16_overflow 0
		.amdhsa_workgroup_processor_mode 1
		.amdhsa_memory_ordered 1
		.amdhsa_forward_progress 1
		.amdhsa_shared_vgpr_count 0
		.amdhsa_exception_fp_ieee_invalid_op 0
		.amdhsa_exception_fp_denorm_src 0
		.amdhsa_exception_fp_ieee_div_zero 0
		.amdhsa_exception_fp_ieee_overflow 0
		.amdhsa_exception_fp_ieee_underflow 0
		.amdhsa_exception_fp_ieee_inexact 0
		.amdhsa_exception_int_div_zero 0
	.end_amdhsa_kernel
	.section	.text._Z27flag_heads_and_tails_kernelIdjN10test_utils7greaterELj65ELj1EEvPT_PxS4_,"axG",@progbits,_Z27flag_heads_and_tails_kernelIdjN10test_utils7greaterELj65ELj1EEvPT_PxS4_,comdat
.Lfunc_end64:
	.size	_Z27flag_heads_and_tails_kernelIdjN10test_utils7greaterELj65ELj1EEvPT_PxS4_, .Lfunc_end64-_Z27flag_heads_and_tails_kernelIdjN10test_utils7greaterELj65ELj1EEvPT_PxS4_
                                        ; -- End function
	.set _Z27flag_heads_and_tails_kernelIdjN10test_utils7greaterELj65ELj1EEvPT_PxS4_.num_vgpr, 8
	.set _Z27flag_heads_and_tails_kernelIdjN10test_utils7greaterELj65ELj1EEvPT_PxS4_.num_agpr, 0
	.set _Z27flag_heads_and_tails_kernelIdjN10test_utils7greaterELj65ELj1EEvPT_PxS4_.numbered_sgpr, 16
	.set _Z27flag_heads_and_tails_kernelIdjN10test_utils7greaterELj65ELj1EEvPT_PxS4_.num_named_barrier, 0
	.set _Z27flag_heads_and_tails_kernelIdjN10test_utils7greaterELj65ELj1EEvPT_PxS4_.private_seg_size, 0
	.set _Z27flag_heads_and_tails_kernelIdjN10test_utils7greaterELj65ELj1EEvPT_PxS4_.uses_vcc, 1
	.set _Z27flag_heads_and_tails_kernelIdjN10test_utils7greaterELj65ELj1EEvPT_PxS4_.uses_flat_scratch, 0
	.set _Z27flag_heads_and_tails_kernelIdjN10test_utils7greaterELj65ELj1EEvPT_PxS4_.has_dyn_sized_stack, 0
	.set _Z27flag_heads_and_tails_kernelIdjN10test_utils7greaterELj65ELj1EEvPT_PxS4_.has_recursion, 0
	.set _Z27flag_heads_and_tails_kernelIdjN10test_utils7greaterELj65ELj1EEvPT_PxS4_.has_indirect_call, 0
	.section	.AMDGPU.csdata,"",@progbits
; Kernel info:
; codeLenInByte = 848
; TotalNumSgprs: 18
; NumVgprs: 8
; ScratchSize: 0
; MemoryBound: 0
; FloatMode: 240
; IeeeMode: 1
; LDSByteSize: 1040 bytes/workgroup (compile time only)
; SGPRBlocks: 0
; VGPRBlocks: 0
; NumSGPRsForWavesPerEU: 18
; NumVGPRsForWavesPerEU: 8
; Occupancy: 16
; WaveLimiterHint : 0
; COMPUTE_PGM_RSRC2:SCRATCH_EN: 0
; COMPUTE_PGM_RSRC2:USER_SGPR: 6
; COMPUTE_PGM_RSRC2:TRAP_HANDLER: 0
; COMPUTE_PGM_RSRC2:TGID_X_EN: 1
; COMPUTE_PGM_RSRC2:TGID_Y_EN: 0
; COMPUTE_PGM_RSRC2:TGID_Z_EN: 0
; COMPUTE_PGM_RSRC2:TIDIG_COMP_CNT: 0
	.section	.text._Z27flag_heads_and_tails_kernelIib15custom_flag_op1IiELj256ELj1EEvPT_PxS4_,"axG",@progbits,_Z27flag_heads_and_tails_kernelIib15custom_flag_op1IiELj256ELj1EEvPT_PxS4_,comdat
	.protected	_Z27flag_heads_and_tails_kernelIib15custom_flag_op1IiELj256ELj1EEvPT_PxS4_ ; -- Begin function _Z27flag_heads_and_tails_kernelIib15custom_flag_op1IiELj256ELj1EEvPT_PxS4_
	.globl	_Z27flag_heads_and_tails_kernelIib15custom_flag_op1IiELj256ELj1EEvPT_PxS4_
	.p2align	8
	.type	_Z27flag_heads_and_tails_kernelIib15custom_flag_op1IiELj256ELj1EEvPT_PxS4_,@function
_Z27flag_heads_and_tails_kernelIib15custom_flag_op1IiELj256ELj1EEvPT_PxS4_: ; @_Z27flag_heads_and_tails_kernelIib15custom_flag_op1IiELj256ELj1EEvPT_PxS4_
; %bb.0:
	s_clause 0x1
	s_load_dwordx4 s[8:11], s[4:5], 0x0
	s_load_dwordx2 s[2:3], s[4:5], 0x10
	s_lshl_b32 s12, s6, 8
	s_mov_b32 s13, 0
	v_lshlrev_b32_e32 v2, 2, v0
	s_lshl_b64 s[0:1], s[12:13], 2
	s_waitcnt lgkmcnt(0)
	s_add_u32 s0, s8, s0
	s_addc_u32 s1, s9, s1
	global_load_dword v1, v2, s[0:1]
	s_and_b32 s1, s6, 3
	s_cmp_lt_i32 s1, 2
	s_cbranch_scc1 .LBB65_8
; %bb.1:
	s_cmp_gt_i32 s1, 2
	s_cbranch_scc0 .LBB65_9
; %bb.2:
	v_mov_b32_e32 v3, 1
	s_mov_b32 s0, exec_lo
	s_waitcnt vmcnt(0)
	ds_write_b32 v2, v1
	s_waitcnt lgkmcnt(0)
	s_barrier
	buffer_gl0_inv
	v_cmpx_ne_u32_e32 0, v0
	s_cbranch_execz .LBB65_4
; %bb.3:
	v_add_nc_u32_e32 v3, -4, v2
	ds_read_b32 v3, v3
	s_waitcnt lgkmcnt(0)
	v_cmp_eq_u32_e32 vcc_lo, v3, v1
	v_cndmask_b32_e64 v3, 0, 1, vcc_lo
.LBB65_4:
	s_or_b32 exec_lo, exec_lo, s0
	s_mov_b32 s4, -1
	s_mov_b32 s0, exec_lo
	ds_write_b32 v2, v1 offset:1024
	s_waitcnt lgkmcnt(0)
	s_barrier
	buffer_gl0_inv
	v_cmpx_ne_u32_e32 0xff, v0
	s_cbranch_execz .LBB65_6
; %bb.5:
	ds_read_b32 v4, v2 offset:1028
	s_waitcnt lgkmcnt(0)
	v_cmp_eq_u32_e32 vcc_lo, v1, v4
	s_orn2_b32 s4, vcc_lo, exec_lo
.LBB65_6:
	s_or_b32 exec_lo, exec_lo, s0
.LBB65_7:
	s_cbranch_execz .LBB65_15
	s_branch .LBB65_27
.LBB65_8:
                                        ; implicit-def: $sgpr4
                                        ; implicit-def: $vgpr3
	s_branch .LBB65_15
.LBB65_9:
                                        ; implicit-def: $sgpr4
                                        ; implicit-def: $vgpr3
	s_cbranch_execz .LBB65_7
; %bb.10:
	s_add_i32 s4, s12, -1
	s_mov_b32 s5, 0
	s_waitcnt vmcnt(0)
	ds_write_b32 v2, v1
	s_lshl_b64 s[4:5], s[4:5], 2
	s_add_u32 s4, s8, s4
	s_addc_u32 s5, s9, s5
	s_load_dword s0, s[4:5], 0x0
	s_mov_b32 s4, -1
	s_waitcnt lgkmcnt(0)
	s_barrier
	buffer_gl0_inv
	v_mov_b32_e32 v3, s0
	s_mov_b32 s0, exec_lo
	v_cmpx_ne_u32_e32 0, v0
; %bb.11:
	v_add_nc_u32_e32 v3, -4, v2
	ds_read_b32 v3, v3
; %bb.12:
	s_or_b32 exec_lo, exec_lo, s0
	s_mov_b32 s5, exec_lo
	s_waitcnt lgkmcnt(0)
	v_cmp_eq_u32_e32 vcc_lo, v3, v1
	ds_write_b32 v2, v1 offset:1024
	s_waitcnt lgkmcnt(0)
	s_barrier
	buffer_gl0_inv
	v_cmpx_ne_u32_e32 0xff, v0
	s_cbranch_execz .LBB65_14
; %bb.13:
	ds_read_b32 v3, v2 offset:1028
	s_waitcnt lgkmcnt(0)
	v_cmp_eq_u32_e64 s0, v1, v3
	s_orn2_b32 s4, s0, exec_lo
.LBB65_14:
	s_or_b32 exec_lo, exec_lo, s5
	v_cndmask_b32_e64 v3, 0, 1, vcc_lo
	s_cbranch_execnz .LBB65_27
.LBB65_15:
	s_cmp_eq_u32 s1, 1
	v_cmp_ne_u32_e32 vcc_lo, 0, v0
	s_cbranch_scc1 .LBB65_21
; %bb.16:
	s_add_i32 s0, s12, 0x100
	s_mov_b32 s1, 0
	v_mov_b32_e32 v3, 1
	s_lshl_b64 s[0:1], s[0:1], 2
	s_waitcnt vmcnt(0)
	ds_write_b32 v2, v1
	s_add_u32 s0, s8, s0
	s_addc_u32 s1, s9, s1
	s_load_dword s0, s[0:1], 0x0
	s_waitcnt lgkmcnt(0)
	s_barrier
	buffer_gl0_inv
	s_and_saveexec_b32 s1, vcc_lo
	s_cbranch_execz .LBB65_18
; %bb.17:
	v_add_nc_u32_e32 v3, -4, v2
	ds_read_b32 v3, v3
	s_waitcnt lgkmcnt(0)
	v_cmp_eq_u32_e32 vcc_lo, v3, v1
	v_cndmask_b32_e64 v3, 0, 1, vcc_lo
.LBB65_18:
	s_or_b32 exec_lo, exec_lo, s1
	v_mov_b32_e32 v4, s0
	s_mov_b32 s0, exec_lo
	ds_write_b32 v2, v1 offset:1024
	s_waitcnt lgkmcnt(0)
	s_barrier
	buffer_gl0_inv
	v_cmpx_ne_u32_e32 0xff, v0
; %bb.19:
	ds_read_b32 v4, v2 offset:1028
; %bb.20:
	s_or_b32 exec_lo, exec_lo, s0
	s_waitcnt lgkmcnt(0)
	v_cmp_eq_u32_e64 s4, v1, v4
	s_branch .LBB65_27
.LBB65_21:
                                        ; implicit-def: $sgpr4
                                        ; implicit-def: $vgpr3
	s_cbranch_execz .LBB65_27
; %bb.22:
	s_add_i32 s0, s12, -1
	s_mov_b32 s1, 0
	s_waitcnt vmcnt(0)
	ds_write_b32 v2, v1
	s_lshl_b64 s[4:5], s[0:1], 2
	s_add_u32 s4, s8, s4
	s_addc_u32 s5, s9, s5
	s_add_i32 s0, s12, 0x100
	s_load_dword s4, s[4:5], 0x0
	s_lshl_b64 s[0:1], s[0:1], 2
	s_add_u32 s0, s8, s0
	s_addc_u32 s1, s9, s1
	s_load_dword s0, s[0:1], 0x0
	s_mov_b32 s1, exec_lo
	s_waitcnt lgkmcnt(0)
	s_barrier
	buffer_gl0_inv
	v_mov_b32_e32 v3, s4
	v_cmpx_ne_u32_e32 0, v0
; %bb.23:
	v_add_nc_u32_e32 v3, -4, v2
	ds_read_b32 v3, v3
; %bb.24:
	s_or_b32 exec_lo, exec_lo, s1
	v_mov_b32_e32 v4, s0
	s_mov_b32 s0, exec_lo
	ds_write_b32 v2, v1 offset:1024
	s_waitcnt lgkmcnt(0)
	s_barrier
	buffer_gl0_inv
	v_cmpx_ne_u32_e32 0xff, v0
; %bb.25:
	ds_read_b32 v4, v2 offset:1028
; %bb.26:
	s_or_b32 exec_lo, exec_lo, s0
	v_cmp_eq_u32_e32 vcc_lo, v3, v1
	s_waitcnt lgkmcnt(0)
	v_cmp_eq_u32_e64 s4, v1, v4
	v_cndmask_b32_e64 v3, 0, 1, vcc_lo
.LBB65_27:
	s_lshl_b64 s[0:1], s[12:13], 3
	s_mov_b32 s5, 0
	v_lshlrev_b32_e32 v4, 3, v0
	v_and_b32_e32 v0, 0xff, v3
	s_waitcnt vmcnt(0)
	v_mov_b32_e32 v1, 0
	s_add_u32 s6, s10, s0
	v_cndmask_b32_e64 v2, 0, 1, s4
	v_mov_b32_e32 v3, s5
	s_addc_u32 s7, s11, s1
	s_add_u32 s0, s2, s0
	s_addc_u32 s1, s3, s1
	global_store_dwordx2 v4, v[0:1], s[6:7]
	global_store_dwordx2 v4, v[2:3], s[0:1]
	s_endpgm
	.section	.rodata,"a",@progbits
	.p2align	6, 0x0
	.amdhsa_kernel _Z27flag_heads_and_tails_kernelIib15custom_flag_op1IiELj256ELj1EEvPT_PxS4_
		.amdhsa_group_segment_fixed_size 2048
		.amdhsa_private_segment_fixed_size 0
		.amdhsa_kernarg_size 24
		.amdhsa_user_sgpr_count 6
		.amdhsa_user_sgpr_private_segment_buffer 1
		.amdhsa_user_sgpr_dispatch_ptr 0
		.amdhsa_user_sgpr_queue_ptr 0
		.amdhsa_user_sgpr_kernarg_segment_ptr 1
		.amdhsa_user_sgpr_dispatch_id 0
		.amdhsa_user_sgpr_flat_scratch_init 0
		.amdhsa_user_sgpr_private_segment_size 0
		.amdhsa_wavefront_size32 1
		.amdhsa_uses_dynamic_stack 0
		.amdhsa_system_sgpr_private_segment_wavefront_offset 0
		.amdhsa_system_sgpr_workgroup_id_x 1
		.amdhsa_system_sgpr_workgroup_id_y 0
		.amdhsa_system_sgpr_workgroup_id_z 0
		.amdhsa_system_sgpr_workgroup_info 0
		.amdhsa_system_vgpr_workitem_id 0
		.amdhsa_next_free_vgpr 5
		.amdhsa_next_free_sgpr 14
		.amdhsa_reserve_vcc 1
		.amdhsa_reserve_flat_scratch 0
		.amdhsa_float_round_mode_32 0
		.amdhsa_float_round_mode_16_64 0
		.amdhsa_float_denorm_mode_32 3
		.amdhsa_float_denorm_mode_16_64 3
		.amdhsa_dx10_clamp 1
		.amdhsa_ieee_mode 1
		.amdhsa_fp16_overflow 0
		.amdhsa_workgroup_processor_mode 1
		.amdhsa_memory_ordered 1
		.amdhsa_forward_progress 1
		.amdhsa_shared_vgpr_count 0
		.amdhsa_exception_fp_ieee_invalid_op 0
		.amdhsa_exception_fp_denorm_src 0
		.amdhsa_exception_fp_ieee_div_zero 0
		.amdhsa_exception_fp_ieee_overflow 0
		.amdhsa_exception_fp_ieee_underflow 0
		.amdhsa_exception_fp_ieee_inexact 0
		.amdhsa_exception_int_div_zero 0
	.end_amdhsa_kernel
	.section	.text._Z27flag_heads_and_tails_kernelIib15custom_flag_op1IiELj256ELj1EEvPT_PxS4_,"axG",@progbits,_Z27flag_heads_and_tails_kernelIib15custom_flag_op1IiELj256ELj1EEvPT_PxS4_,comdat
.Lfunc_end65:
	.size	_Z27flag_heads_and_tails_kernelIib15custom_flag_op1IiELj256ELj1EEvPT_PxS4_, .Lfunc_end65-_Z27flag_heads_and_tails_kernelIib15custom_flag_op1IiELj256ELj1EEvPT_PxS4_
                                        ; -- End function
	.set _Z27flag_heads_and_tails_kernelIib15custom_flag_op1IiELj256ELj1EEvPT_PxS4_.num_vgpr, 5
	.set _Z27flag_heads_and_tails_kernelIib15custom_flag_op1IiELj256ELj1EEvPT_PxS4_.num_agpr, 0
	.set _Z27flag_heads_and_tails_kernelIib15custom_flag_op1IiELj256ELj1EEvPT_PxS4_.numbered_sgpr, 14
	.set _Z27flag_heads_and_tails_kernelIib15custom_flag_op1IiELj256ELj1EEvPT_PxS4_.num_named_barrier, 0
	.set _Z27flag_heads_and_tails_kernelIib15custom_flag_op1IiELj256ELj1EEvPT_PxS4_.private_seg_size, 0
	.set _Z27flag_heads_and_tails_kernelIib15custom_flag_op1IiELj256ELj1EEvPT_PxS4_.uses_vcc, 1
	.set _Z27flag_heads_and_tails_kernelIib15custom_flag_op1IiELj256ELj1EEvPT_PxS4_.uses_flat_scratch, 0
	.set _Z27flag_heads_and_tails_kernelIib15custom_flag_op1IiELj256ELj1EEvPT_PxS4_.has_dyn_sized_stack, 0
	.set _Z27flag_heads_and_tails_kernelIib15custom_flag_op1IiELj256ELj1EEvPT_PxS4_.has_recursion, 0
	.set _Z27flag_heads_and_tails_kernelIib15custom_flag_op1IiELj256ELj1EEvPT_PxS4_.has_indirect_call, 0
	.section	.AMDGPU.csdata,"",@progbits
; Kernel info:
; codeLenInByte = 864
; TotalNumSgprs: 16
; NumVgprs: 5
; ScratchSize: 0
; MemoryBound: 0
; FloatMode: 240
; IeeeMode: 1
; LDSByteSize: 2048 bytes/workgroup (compile time only)
; SGPRBlocks: 0
; VGPRBlocks: 0
; NumSGPRsForWavesPerEU: 16
; NumVGPRsForWavesPerEU: 5
; Occupancy: 16
; WaveLimiterHint : 0
; COMPUTE_PGM_RSRC2:SCRATCH_EN: 0
; COMPUTE_PGM_RSRC2:USER_SGPR: 6
; COMPUTE_PGM_RSRC2:TRAP_HANDLER: 0
; COMPUTE_PGM_RSRC2:TGID_X_EN: 1
; COMPUTE_PGM_RSRC2:TGID_Y_EN: 0
; COMPUTE_PGM_RSRC2:TGID_Z_EN: 0
; COMPUTE_PGM_RSRC2:TIDIG_COMP_CNT: 0
	.section	.text._Z27flag_heads_and_tails_kernelIccN10test_utils10less_equalELj1024ELj1EEvPT_PxS4_,"axG",@progbits,_Z27flag_heads_and_tails_kernelIccN10test_utils10less_equalELj1024ELj1EEvPT_PxS4_,comdat
	.protected	_Z27flag_heads_and_tails_kernelIccN10test_utils10less_equalELj1024ELj1EEvPT_PxS4_ ; -- Begin function _Z27flag_heads_and_tails_kernelIccN10test_utils10less_equalELj1024ELj1EEvPT_PxS4_
	.globl	_Z27flag_heads_and_tails_kernelIccN10test_utils10less_equalELj1024ELj1EEvPT_PxS4_
	.p2align	8
	.type	_Z27flag_heads_and_tails_kernelIccN10test_utils10less_equalELj1024ELj1EEvPT_PxS4_,@function
_Z27flag_heads_and_tails_kernelIccN10test_utils10less_equalELj1024ELj1EEvPT_PxS4_: ; @_Z27flag_heads_and_tails_kernelIccN10test_utils10less_equalELj1024ELj1EEvPT_PxS4_
; %bb.0:
	s_load_dwordx4 s[0:3], s[4:5], 0x0
	s_lshl_b32 s8, s6, 10
	s_load_dwordx2 s[4:5], s[4:5], 0x10
	s_mov_b32 s9, 0
	s_waitcnt lgkmcnt(0)
	s_add_u32 s10, s0, s8
	s_addc_u32 s11, s1, 0
	s_and_b32 s6, s6, 3
	global_load_sbyte v1, v0, s[10:11]
	s_cmp_lt_i32 s6, 2
	s_cbranch_scc1 .LBB66_8
; %bb.1:
	s_cmp_gt_i32 s6, 2
	s_cbranch_scc0 .LBB66_9
; %bb.2:
	v_mov_b32_e32 v2, 1
	s_mov_b32 s7, exec_lo
	s_waitcnt vmcnt(0)
	ds_write_b8 v0, v1
	s_waitcnt lgkmcnt(0)
	s_barrier
	buffer_gl0_inv
	v_cmpx_ne_u32_e32 0, v0
	s_cbranch_execz .LBB66_4
; %bb.3:
	v_add_nc_u32_e32 v2, -1, v0
	ds_read_i8 v2, v2
	s_waitcnt lgkmcnt(0)
	v_cmp_le_i16_e32 vcc_lo, v2, v1
	v_cndmask_b32_e64 v2, 0, 1, vcc_lo
.LBB66_4:
	s_or_b32 exec_lo, exec_lo, s7
	s_mov_b32 s7, -1
	s_mov_b32 s10, exec_lo
	ds_write_b8 v0, v1 offset:1024
	s_waitcnt lgkmcnt(0)
	s_barrier
	buffer_gl0_inv
	v_cmpx_ne_u32_e32 0x3ff, v0
	s_cbranch_execz .LBB66_6
; %bb.5:
	ds_read_i8 v3, v0 offset:1025
	s_waitcnt lgkmcnt(0)
	v_cmp_le_i16_e32 vcc_lo, v1, v3
	s_orn2_b32 s7, vcc_lo, exec_lo
.LBB66_6:
	s_or_b32 exec_lo, exec_lo, s10
.LBB66_7:
	s_cbranch_execz .LBB66_15
	s_branch .LBB66_27
.LBB66_8:
                                        ; implicit-def: $sgpr7
                                        ; implicit-def: $vgpr2
	s_branch .LBB66_15
.LBB66_9:
                                        ; implicit-def: $sgpr7
                                        ; implicit-def: $vgpr2
	s_cbranch_execz .LBB66_7
; %bb.10:
	s_add_i32 s7, s8, -1
	s_mov_b32 s10, exec_lo
	v_mov_b32_e32 v2, s7
	s_mov_b32 s7, -1
	s_waitcnt vmcnt(0)
	ds_write_b8 v0, v1
	global_load_ubyte v2, v2, s[0:1]
	s_waitcnt vmcnt(0) lgkmcnt(0)
	s_barrier
	buffer_gl0_inv
	v_cmpx_ne_u32_e32 0, v0
; %bb.11:
	v_add_nc_u32_e32 v2, -1, v0
	ds_read_u8 v2, v2
; %bb.12:
	s_or_b32 exec_lo, exec_lo, s10
	s_waitcnt lgkmcnt(0)
	v_cmp_le_i16_sdwa s10, sext(v2), v1 src0_sel:BYTE_0 src1_sel:DWORD
	s_mov_b32 s11, exec_lo
	ds_write_b8 v0, v1 offset:1024
	s_waitcnt lgkmcnt(0)
	s_barrier
	buffer_gl0_inv
	v_cmpx_ne_u32_e32 0x3ff, v0
	s_cbranch_execz .LBB66_14
; %bb.13:
	ds_read_i8 v2, v0 offset:1025
	s_waitcnt lgkmcnt(0)
	v_cmp_le_i16_e32 vcc_lo, v1, v2
	s_orn2_b32 s7, vcc_lo, exec_lo
.LBB66_14:
	s_or_b32 exec_lo, exec_lo, s11
	v_cndmask_b32_e64 v2, 0, 1, s10
	s_cbranch_execnz .LBB66_27
.LBB66_15:
	s_cmp_eq_u32 s6, 1
	v_cmp_ne_u32_e32 vcc_lo, 0, v0
	s_cbranch_scc1 .LBB66_21
; %bb.16:
	s_add_i32 s6, s8, 0x400
	s_waitcnt vmcnt(0)
	ds_write_b8 v0, v1
	v_mov_b32_e32 v2, s6
	global_load_ubyte v3, v2, s[0:1]
	v_mov_b32_e32 v2, 1
	s_waitcnt vmcnt(0) lgkmcnt(0)
	s_barrier
	buffer_gl0_inv
	s_and_saveexec_b32 s6, vcc_lo
	s_cbranch_execz .LBB66_18
; %bb.17:
	v_add_nc_u32_e32 v2, -1, v0
	ds_read_i8 v2, v2
	s_waitcnt lgkmcnt(0)
	v_cmp_le_i16_e32 vcc_lo, v2, v1
	v_cndmask_b32_e64 v2, 0, 1, vcc_lo
.LBB66_18:
	s_or_b32 exec_lo, exec_lo, s6
	s_mov_b32 s6, exec_lo
	ds_write_b8 v0, v1 offset:1024
	s_waitcnt lgkmcnt(0)
	s_barrier
	buffer_gl0_inv
	v_cmpx_ne_u32_e32 0x3ff, v0
; %bb.19:
	ds_read_u8 v3, v0 offset:1025
; %bb.20:
	s_or_b32 exec_lo, exec_lo, s6
	s_waitcnt lgkmcnt(0)
	v_cmp_le_i16_sdwa s7, v1, sext(v3) src0_sel:DWORD src1_sel:BYTE_0
	s_branch .LBB66_27
.LBB66_21:
                                        ; implicit-def: $sgpr7
                                        ; implicit-def: $vgpr2
	s_cbranch_execz .LBB66_27
; %bb.22:
	s_add_i32 s6, s8, -1
	s_add_i32 s7, s8, 0x400
	v_mov_b32_e32 v2, s6
	v_mov_b32_e32 v3, s7
	s_clause 0x1
	global_load_ubyte v2, v2, s[0:1]
	global_load_ubyte v3, v3, s[0:1]
	s_mov_b32 s0, exec_lo
	s_waitcnt vmcnt(2)
	ds_write_b8 v0, v1
	s_waitcnt vmcnt(0) lgkmcnt(0)
	s_barrier
	buffer_gl0_inv
	v_cmpx_ne_u32_e32 0, v0
; %bb.23:
	v_add_nc_u32_e32 v2, -1, v0
	ds_read_u8 v2, v2
; %bb.24:
	s_or_b32 exec_lo, exec_lo, s0
	s_mov_b32 s0, exec_lo
	ds_write_b8 v0, v1 offset:1024
	s_waitcnt lgkmcnt(0)
	s_barrier
	buffer_gl0_inv
	v_cmpx_ne_u32_e32 0x3ff, v0
; %bb.25:
	ds_read_u8 v3, v0 offset:1025
; %bb.26:
	s_or_b32 exec_lo, exec_lo, s0
	v_cmp_le_i16_sdwa s0, sext(v2), v1 src0_sel:BYTE_0 src1_sel:DWORD
	s_waitcnt lgkmcnt(0)
	v_cmp_le_i16_sdwa s7, v1, sext(v3) src0_sel:DWORD src1_sel:BYTE_0
	v_cndmask_b32_e64 v2, 0, 1, s0
.LBB66_27:
	s_lshl_b64 s[0:1], s[8:9], 3
	s_mov_b32 s6, 0
	v_lshlrev_b32_e32 v4, 3, v0
	v_and_b32_e32 v0, 0xff, v2
	s_waitcnt vmcnt(0)
	v_mov_b32_e32 v1, 0
	s_add_u32 s2, s2, s0
	v_cndmask_b32_e64 v2, 0, 1, s7
	v_mov_b32_e32 v3, s6
	s_addc_u32 s3, s3, s1
	s_add_u32 s0, s4, s0
	s_addc_u32 s1, s5, s1
	global_store_dwordx2 v4, v[0:1], s[2:3]
	global_store_dwordx2 v4, v[2:3], s[0:1]
	s_endpgm
	.section	.rodata,"a",@progbits
	.p2align	6, 0x0
	.amdhsa_kernel _Z27flag_heads_and_tails_kernelIccN10test_utils10less_equalELj1024ELj1EEvPT_PxS4_
		.amdhsa_group_segment_fixed_size 2048
		.amdhsa_private_segment_fixed_size 0
		.amdhsa_kernarg_size 24
		.amdhsa_user_sgpr_count 6
		.amdhsa_user_sgpr_private_segment_buffer 1
		.amdhsa_user_sgpr_dispatch_ptr 0
		.amdhsa_user_sgpr_queue_ptr 0
		.amdhsa_user_sgpr_kernarg_segment_ptr 1
		.amdhsa_user_sgpr_dispatch_id 0
		.amdhsa_user_sgpr_flat_scratch_init 0
		.amdhsa_user_sgpr_private_segment_size 0
		.amdhsa_wavefront_size32 1
		.amdhsa_uses_dynamic_stack 0
		.amdhsa_system_sgpr_private_segment_wavefront_offset 0
		.amdhsa_system_sgpr_workgroup_id_x 1
		.amdhsa_system_sgpr_workgroup_id_y 0
		.amdhsa_system_sgpr_workgroup_id_z 0
		.amdhsa_system_sgpr_workgroup_info 0
		.amdhsa_system_vgpr_workitem_id 0
		.amdhsa_next_free_vgpr 5
		.amdhsa_next_free_sgpr 12
		.amdhsa_reserve_vcc 1
		.amdhsa_reserve_flat_scratch 0
		.amdhsa_float_round_mode_32 0
		.amdhsa_float_round_mode_16_64 0
		.amdhsa_float_denorm_mode_32 3
		.amdhsa_float_denorm_mode_16_64 3
		.amdhsa_dx10_clamp 1
		.amdhsa_ieee_mode 1
		.amdhsa_fp16_overflow 0
		.amdhsa_workgroup_processor_mode 1
		.amdhsa_memory_ordered 1
		.amdhsa_forward_progress 1
		.amdhsa_shared_vgpr_count 0
		.amdhsa_exception_fp_ieee_invalid_op 0
		.amdhsa_exception_fp_denorm_src 0
		.amdhsa_exception_fp_ieee_div_zero 0
		.amdhsa_exception_fp_ieee_overflow 0
		.amdhsa_exception_fp_ieee_underflow 0
		.amdhsa_exception_fp_ieee_inexact 0
		.amdhsa_exception_int_div_zero 0
	.end_amdhsa_kernel
	.section	.text._Z27flag_heads_and_tails_kernelIccN10test_utils10less_equalELj1024ELj1EEvPT_PxS4_,"axG",@progbits,_Z27flag_heads_and_tails_kernelIccN10test_utils10less_equalELj1024ELj1EEvPT_PxS4_,comdat
.Lfunc_end66:
	.size	_Z27flag_heads_and_tails_kernelIccN10test_utils10less_equalELj1024ELj1EEvPT_PxS4_, .Lfunc_end66-_Z27flag_heads_and_tails_kernelIccN10test_utils10less_equalELj1024ELj1EEvPT_PxS4_
                                        ; -- End function
	.set _Z27flag_heads_and_tails_kernelIccN10test_utils10less_equalELj1024ELj1EEvPT_PxS4_.num_vgpr, 5
	.set _Z27flag_heads_and_tails_kernelIccN10test_utils10less_equalELj1024ELj1EEvPT_PxS4_.num_agpr, 0
	.set _Z27flag_heads_and_tails_kernelIccN10test_utils10less_equalELj1024ELj1EEvPT_PxS4_.numbered_sgpr, 12
	.set _Z27flag_heads_and_tails_kernelIccN10test_utils10less_equalELj1024ELj1EEvPT_PxS4_.num_named_barrier, 0
	.set _Z27flag_heads_and_tails_kernelIccN10test_utils10less_equalELj1024ELj1EEvPT_PxS4_.private_seg_size, 0
	.set _Z27flag_heads_and_tails_kernelIccN10test_utils10less_equalELj1024ELj1EEvPT_PxS4_.uses_vcc, 1
	.set _Z27flag_heads_and_tails_kernelIccN10test_utils10less_equalELj1024ELj1EEvPT_PxS4_.uses_flat_scratch, 0
	.set _Z27flag_heads_and_tails_kernelIccN10test_utils10less_equalELj1024ELj1EEvPT_PxS4_.has_dyn_sized_stack, 0
	.set _Z27flag_heads_and_tails_kernelIccN10test_utils10less_equalELj1024ELj1EEvPT_PxS4_.has_recursion, 0
	.set _Z27flag_heads_and_tails_kernelIccN10test_utils10less_equalELj1024ELj1EEvPT_PxS4_.has_indirect_call, 0
	.section	.AMDGPU.csdata,"",@progbits
; Kernel info:
; codeLenInByte = 800
; TotalNumSgprs: 14
; NumVgprs: 5
; ScratchSize: 0
; MemoryBound: 0
; FloatMode: 240
; IeeeMode: 1
; LDSByteSize: 2048 bytes/workgroup (compile time only)
; SGPRBlocks: 0
; VGPRBlocks: 0
; NumSGPRsForWavesPerEU: 14
; NumVGPRsForWavesPerEU: 5
; Occupancy: 16
; WaveLimiterHint : 0
; COMPUTE_PGM_RSRC2:SCRATCH_EN: 0
; COMPUTE_PGM_RSRC2:USER_SGPR: 6
; COMPUTE_PGM_RSRC2:TRAP_HANDLER: 0
; COMPUTE_PGM_RSRC2:TGID_X_EN: 1
; COMPUTE_PGM_RSRC2:TGID_Y_EN: 0
; COMPUTE_PGM_RSRC2:TGID_Z_EN: 0
; COMPUTE_PGM_RSRC2:TIDIG_COMP_CNT: 0
	.section	.text._Z27flag_heads_and_tails_kernelI12hip_bfloat16iN10test_utils4lessELj256ELj1EEvPT_PxS5_,"axG",@progbits,_Z27flag_heads_and_tails_kernelI12hip_bfloat16iN10test_utils4lessELj256ELj1EEvPT_PxS5_,comdat
	.protected	_Z27flag_heads_and_tails_kernelI12hip_bfloat16iN10test_utils4lessELj256ELj1EEvPT_PxS5_ ; -- Begin function _Z27flag_heads_and_tails_kernelI12hip_bfloat16iN10test_utils4lessELj256ELj1EEvPT_PxS5_
	.globl	_Z27flag_heads_and_tails_kernelI12hip_bfloat16iN10test_utils4lessELj256ELj1EEvPT_PxS5_
	.p2align	8
	.type	_Z27flag_heads_and_tails_kernelI12hip_bfloat16iN10test_utils4lessELj256ELj1EEvPT_PxS5_,@function
_Z27flag_heads_and_tails_kernelI12hip_bfloat16iN10test_utils4lessELj256ELj1EEvPT_PxS5_: ; @_Z27flag_heads_and_tails_kernelI12hip_bfloat16iN10test_utils4lessELj256ELj1EEvPT_PxS5_
; %bb.0:
	s_clause 0x1
	s_load_dwordx4 s[8:11], s[4:5], 0x0
	s_load_dwordx2 s[2:3], s[4:5], 0x10
	s_lshl_b32 s12, s6, 8
	s_mov_b32 s13, 0
	v_lshlrev_b32_e32 v3, 1, v0
	s_lshl_b64 s[0:1], s[12:13], 1
	s_waitcnt lgkmcnt(0)
	s_add_u32 s0, s8, s0
	s_addc_u32 s1, s9, s1
	global_load_ushort v2, v3, s[0:1]
	s_and_b32 s1, s6, 3
	s_cmp_lt_i32 s1, 2
	s_cbranch_scc1 .LBB67_8
; %bb.1:
	s_cmp_gt_i32 s1, 2
	s_cbranch_scc0 .LBB67_9
; %bb.2:
	v_mov_b32_e32 v1, 1
	s_mov_b32 s0, exec_lo
	s_waitcnt vmcnt(0)
	ds_write_b16 v3, v2
	s_waitcnt lgkmcnt(0)
	s_barrier
	buffer_gl0_inv
	v_cmpx_ne_u32_e32 0, v0
	s_cbranch_execz .LBB67_4
; %bb.3:
	v_add_nc_u32_e32 v1, -2, v3
	v_lshlrev_b32_e32 v4, 16, v2
	ds_read_u16 v1, v1
	s_waitcnt lgkmcnt(0)
	v_lshlrev_b32_e32 v1, 16, v1
	v_cmp_lt_f32_e32 vcc_lo, v1, v4
	v_cndmask_b32_e64 v1, 0, 1, vcc_lo
.LBB67_4:
	s_or_b32 exec_lo, exec_lo, s0
	s_mov_b32 s4, -1
	s_mov_b32 s0, exec_lo
	ds_write_b16 v3, v2 offset:512
	s_waitcnt lgkmcnt(0)
	s_barrier
	buffer_gl0_inv
	v_cmpx_ne_u32_e32 0xff, v0
	s_cbranch_execz .LBB67_6
; %bb.5:
	ds_read_u16 v4, v3 offset:514
	v_lshlrev_b32_e32 v5, 16, v2
	s_waitcnt lgkmcnt(0)
	v_lshlrev_b32_e32 v4, 16, v4
	v_cmp_lt_f32_e32 vcc_lo, v5, v4
	s_orn2_b32 s4, vcc_lo, exec_lo
.LBB67_6:
	s_or_b32 exec_lo, exec_lo, s0
.LBB67_7:
	s_cbranch_execz .LBB67_15
	s_branch .LBB67_27
.LBB67_8:
                                        ; implicit-def: $sgpr4
                                        ; implicit-def: $vgpr1
	s_branch .LBB67_15
.LBB67_9:
                                        ; implicit-def: $sgpr4
                                        ; implicit-def: $vgpr1
	s_cbranch_execz .LBB67_7
; %bb.10:
	s_add_i32 s4, s12, -1
	s_mov_b32 s5, 0
	v_mov_b32_e32 v1, 0
	s_lshl_b64 s[4:5], s[4:5], 1
	s_mov_b32 s0, exec_lo
	s_add_u32 s4, s8, s4
	s_addc_u32 s5, s9, s5
	s_waitcnt vmcnt(0)
	ds_write_b16 v3, v2
	global_load_ushort v1, v1, s[4:5]
	s_mov_b32 s4, -1
	s_waitcnt vmcnt(0) lgkmcnt(0)
	s_barrier
	buffer_gl0_inv
	v_cmpx_ne_u32_e32 0, v0
; %bb.11:
	v_add_nc_u32_e32 v1, -2, v3
	ds_read_u16 v1, v1
; %bb.12:
	s_or_b32 exec_lo, exec_lo, s0
	v_lshlrev_b32_e32 v4, 16, v2
	s_waitcnt lgkmcnt(0)
	v_lshlrev_b32_e32 v1, 16, v1
	s_mov_b32 s5, exec_lo
	ds_write_b16 v3, v2 offset:512
	s_waitcnt lgkmcnt(0)
	s_barrier
	v_cmp_lt_f32_e32 vcc_lo, v1, v4
	buffer_gl0_inv
	v_cmpx_ne_u32_e32 0xff, v0
	s_cbranch_execz .LBB67_14
; %bb.13:
	ds_read_u16 v1, v3 offset:514
	s_waitcnt lgkmcnt(0)
	v_lshlrev_b32_e32 v1, 16, v1
	v_cmp_lt_f32_e64 s0, v4, v1
	s_orn2_b32 s4, s0, exec_lo
.LBB67_14:
	s_or_b32 exec_lo, exec_lo, s5
	v_cndmask_b32_e64 v1, 0, 1, vcc_lo
	s_cbranch_execnz .LBB67_27
.LBB67_15:
	s_cmp_eq_u32 s1, 1
	v_cmp_ne_u32_e32 vcc_lo, 0, v0
	s_cbranch_scc1 .LBB67_21
; %bb.16:
	s_add_i32 s0, s12, 0x100
	s_mov_b32 s1, 0
	v_mov_b32_e32 v1, 0
	s_lshl_b64 s[0:1], s[0:1], 1
	s_waitcnt vmcnt(0)
	ds_write_b16 v3, v2
	s_add_u32 s0, s8, s0
	s_addc_u32 s1, s9, s1
	global_load_ushort v4, v1, s[0:1]
	v_mov_b32_e32 v1, 1
	s_waitcnt vmcnt(0) lgkmcnt(0)
	s_barrier
	buffer_gl0_inv
	s_and_saveexec_b32 s0, vcc_lo
	s_cbranch_execz .LBB67_18
; %bb.17:
	v_add_nc_u32_e32 v1, -2, v3
	v_lshlrev_b32_e32 v5, 16, v2
	ds_read_u16 v1, v1
	s_waitcnt lgkmcnt(0)
	v_lshlrev_b32_e32 v1, 16, v1
	v_cmp_lt_f32_e32 vcc_lo, v1, v5
	v_cndmask_b32_e64 v1, 0, 1, vcc_lo
.LBB67_18:
	s_or_b32 exec_lo, exec_lo, s0
	s_mov_b32 s0, exec_lo
	ds_write_b16 v3, v2 offset:512
	s_waitcnt lgkmcnt(0)
	s_barrier
	buffer_gl0_inv
	v_cmpx_ne_u32_e32 0xff, v0
; %bb.19:
	ds_read_u16 v4, v3 offset:514
; %bb.20:
	s_or_b32 exec_lo, exec_lo, s0
	s_waitcnt lgkmcnt(0)
	v_lshlrev_b32_e32 v4, 16, v4
	v_lshlrev_b32_e32 v5, 16, v2
	v_cmp_lt_f32_e64 s4, v5, v4
	s_branch .LBB67_27
.LBB67_21:
                                        ; implicit-def: $sgpr4
                                        ; implicit-def: $vgpr1
	s_cbranch_execz .LBB67_27
; %bb.22:
	s_add_i32 s0, s12, -1
	s_mov_b32 s1, 0
	v_mov_b32_e32 v1, 0
	s_lshl_b64 s[4:5], s[0:1], 1
	s_add_u32 s4, s8, s4
	s_addc_u32 s5, s9, s5
	s_add_i32 s0, s12, 0x100
	s_lshl_b64 s[0:1], s[0:1], 1
	s_add_u32 s0, s8, s0
	s_addc_u32 s1, s9, s1
	s_clause 0x1
	global_load_ushort v4, v1, s[4:5]
	global_load_ushort v1, v1, s[0:1]
	s_mov_b32 s0, exec_lo
	s_waitcnt vmcnt(2)
	ds_write_b16 v3, v2
	s_waitcnt vmcnt(0) lgkmcnt(0)
	s_barrier
	buffer_gl0_inv
	v_cmpx_ne_u32_e32 0, v0
; %bb.23:
	v_add_nc_u32_e32 v4, -2, v3
	ds_read_u16 v4, v4
; %bb.24:
	s_or_b32 exec_lo, exec_lo, s0
	s_mov_b32 s0, exec_lo
	ds_write_b16 v3, v2 offset:512
	s_waitcnt lgkmcnt(0)
	s_barrier
	buffer_gl0_inv
	v_cmpx_ne_u32_e32 0xff, v0
; %bb.25:
	ds_read_u16 v1, v3 offset:514
; %bb.26:
	s_or_b32 exec_lo, exec_lo, s0
	v_lshlrev_b32_e32 v2, 16, v2
	v_lshlrev_b32_e32 v3, 16, v4
	s_waitcnt lgkmcnt(0)
	v_lshlrev_b32_e32 v4, 16, v1
	v_cmp_lt_f32_e32 vcc_lo, v3, v2
	v_cmp_lt_f32_e64 s4, v2, v4
	v_cndmask_b32_e64 v1, 0, 1, vcc_lo
.LBB67_27:
	s_lshl_b64 s[0:1], s[12:13], 3
	s_mov_b32 s5, 0
	v_lshlrev_b32_e32 v0, 3, v0
	s_waitcnt vmcnt(0)
	v_mov_b32_e32 v2, 0
	s_add_u32 s6, s10, s0
	v_cndmask_b32_e64 v3, 0, 1, s4
	v_mov_b32_e32 v4, s5
	s_addc_u32 s7, s11, s1
	s_add_u32 s0, s2, s0
	s_addc_u32 s1, s3, s1
	global_store_dwordx2 v0, v[1:2], s[6:7]
	global_store_dwordx2 v0, v[3:4], s[0:1]
	s_endpgm
	.section	.rodata,"a",@progbits
	.p2align	6, 0x0
	.amdhsa_kernel _Z27flag_heads_and_tails_kernelI12hip_bfloat16iN10test_utils4lessELj256ELj1EEvPT_PxS5_
		.amdhsa_group_segment_fixed_size 1024
		.amdhsa_private_segment_fixed_size 0
		.amdhsa_kernarg_size 24
		.amdhsa_user_sgpr_count 6
		.amdhsa_user_sgpr_private_segment_buffer 1
		.amdhsa_user_sgpr_dispatch_ptr 0
		.amdhsa_user_sgpr_queue_ptr 0
		.amdhsa_user_sgpr_kernarg_segment_ptr 1
		.amdhsa_user_sgpr_dispatch_id 0
		.amdhsa_user_sgpr_flat_scratch_init 0
		.amdhsa_user_sgpr_private_segment_size 0
		.amdhsa_wavefront_size32 1
		.amdhsa_uses_dynamic_stack 0
		.amdhsa_system_sgpr_private_segment_wavefront_offset 0
		.amdhsa_system_sgpr_workgroup_id_x 1
		.amdhsa_system_sgpr_workgroup_id_y 0
		.amdhsa_system_sgpr_workgroup_id_z 0
		.amdhsa_system_sgpr_workgroup_info 0
		.amdhsa_system_vgpr_workitem_id 0
		.amdhsa_next_free_vgpr 6
		.amdhsa_next_free_sgpr 14
		.amdhsa_reserve_vcc 1
		.amdhsa_reserve_flat_scratch 0
		.amdhsa_float_round_mode_32 0
		.amdhsa_float_round_mode_16_64 0
		.amdhsa_float_denorm_mode_32 3
		.amdhsa_float_denorm_mode_16_64 3
		.amdhsa_dx10_clamp 1
		.amdhsa_ieee_mode 1
		.amdhsa_fp16_overflow 0
		.amdhsa_workgroup_processor_mode 1
		.amdhsa_memory_ordered 1
		.amdhsa_forward_progress 1
		.amdhsa_shared_vgpr_count 0
		.amdhsa_exception_fp_ieee_invalid_op 0
		.amdhsa_exception_fp_denorm_src 0
		.amdhsa_exception_fp_ieee_div_zero 0
		.amdhsa_exception_fp_ieee_overflow 0
		.amdhsa_exception_fp_ieee_underflow 0
		.amdhsa_exception_fp_ieee_inexact 0
		.amdhsa_exception_int_div_zero 0
	.end_amdhsa_kernel
	.section	.text._Z27flag_heads_and_tails_kernelI12hip_bfloat16iN10test_utils4lessELj256ELj1EEvPT_PxS5_,"axG",@progbits,_Z27flag_heads_and_tails_kernelI12hip_bfloat16iN10test_utils4lessELj256ELj1EEvPT_PxS5_,comdat
.Lfunc_end67:
	.size	_Z27flag_heads_and_tails_kernelI12hip_bfloat16iN10test_utils4lessELj256ELj1EEvPT_PxS5_, .Lfunc_end67-_Z27flag_heads_and_tails_kernelI12hip_bfloat16iN10test_utils4lessELj256ELj1EEvPT_PxS5_
                                        ; -- End function
	.set _Z27flag_heads_and_tails_kernelI12hip_bfloat16iN10test_utils4lessELj256ELj1EEvPT_PxS5_.num_vgpr, 6
	.set _Z27flag_heads_and_tails_kernelI12hip_bfloat16iN10test_utils4lessELj256ELj1EEvPT_PxS5_.num_agpr, 0
	.set _Z27flag_heads_and_tails_kernelI12hip_bfloat16iN10test_utils4lessELj256ELj1EEvPT_PxS5_.numbered_sgpr, 14
	.set _Z27flag_heads_and_tails_kernelI12hip_bfloat16iN10test_utils4lessELj256ELj1EEvPT_PxS5_.num_named_barrier, 0
	.set _Z27flag_heads_and_tails_kernelI12hip_bfloat16iN10test_utils4lessELj256ELj1EEvPT_PxS5_.private_seg_size, 0
	.set _Z27flag_heads_and_tails_kernelI12hip_bfloat16iN10test_utils4lessELj256ELj1EEvPT_PxS5_.uses_vcc, 1
	.set _Z27flag_heads_and_tails_kernelI12hip_bfloat16iN10test_utils4lessELj256ELj1EEvPT_PxS5_.uses_flat_scratch, 0
	.set _Z27flag_heads_and_tails_kernelI12hip_bfloat16iN10test_utils4lessELj256ELj1EEvPT_PxS5_.has_dyn_sized_stack, 0
	.set _Z27flag_heads_and_tails_kernelI12hip_bfloat16iN10test_utils4lessELj256ELj1EEvPT_PxS5_.has_recursion, 0
	.set _Z27flag_heads_and_tails_kernelI12hip_bfloat16iN10test_utils4lessELj256ELj1EEvPT_PxS5_.has_indirect_call, 0
	.section	.AMDGPU.csdata,"",@progbits
; Kernel info:
; codeLenInByte = 912
; TotalNumSgprs: 16
; NumVgprs: 6
; ScratchSize: 0
; MemoryBound: 0
; FloatMode: 240
; IeeeMode: 1
; LDSByteSize: 1024 bytes/workgroup (compile time only)
; SGPRBlocks: 0
; VGPRBlocks: 0
; NumSGPRsForWavesPerEU: 16
; NumVGPRsForWavesPerEU: 6
; Occupancy: 16
; WaveLimiterHint : 0
; COMPUTE_PGM_RSRC2:SCRATCH_EN: 0
; COMPUTE_PGM_RSRC2:USER_SGPR: 6
; COMPUTE_PGM_RSRC2:TRAP_HANDLER: 0
; COMPUTE_PGM_RSRC2:TGID_X_EN: 1
; COMPUTE_PGM_RSRC2:TGID_Y_EN: 0
; COMPUTE_PGM_RSRC2:TGID_Z_EN: 0
; COMPUTE_PGM_RSRC2:TIDIG_COMP_CNT: 0
	.section	.text._Z27flag_heads_and_tails_kernelI6__halfiN10test_utils4lessELj256ELj1EEvPT_PxS5_,"axG",@progbits,_Z27flag_heads_and_tails_kernelI6__halfiN10test_utils4lessELj256ELj1EEvPT_PxS5_,comdat
	.protected	_Z27flag_heads_and_tails_kernelI6__halfiN10test_utils4lessELj256ELj1EEvPT_PxS5_ ; -- Begin function _Z27flag_heads_and_tails_kernelI6__halfiN10test_utils4lessELj256ELj1EEvPT_PxS5_
	.globl	_Z27flag_heads_and_tails_kernelI6__halfiN10test_utils4lessELj256ELj1EEvPT_PxS5_
	.p2align	8
	.type	_Z27flag_heads_and_tails_kernelI6__halfiN10test_utils4lessELj256ELj1EEvPT_PxS5_,@function
_Z27flag_heads_and_tails_kernelI6__halfiN10test_utils4lessELj256ELj1EEvPT_PxS5_: ; @_Z27flag_heads_and_tails_kernelI6__halfiN10test_utils4lessELj256ELj1EEvPT_PxS5_
; %bb.0:
	s_clause 0x1
	s_load_dwordx4 s[8:11], s[4:5], 0x0
	s_load_dwordx2 s[2:3], s[4:5], 0x10
	s_lshl_b32 s12, s6, 8
	s_mov_b32 s13, 0
	v_lshlrev_b32_e32 v3, 1, v0
	s_lshl_b64 s[0:1], s[12:13], 1
	s_waitcnt lgkmcnt(0)
	s_add_u32 s0, s8, s0
	s_addc_u32 s1, s9, s1
	global_load_ushort v2, v3, s[0:1]
	s_and_b32 s1, s6, 3
	s_cmp_lt_i32 s1, 2
	s_cbranch_scc1 .LBB68_8
; %bb.1:
	s_cmp_gt_i32 s1, 2
	s_cbranch_scc0 .LBB68_9
; %bb.2:
	v_mov_b32_e32 v1, 1
	s_mov_b32 s0, exec_lo
	s_waitcnt vmcnt(0)
	ds_write_b16 v3, v2
	s_waitcnt lgkmcnt(0)
	s_barrier
	buffer_gl0_inv
	v_cmpx_ne_u32_e32 0, v0
	s_cbranch_execz .LBB68_4
; %bb.3:
	v_add_nc_u32_e32 v1, -2, v3
	ds_read_u16 v1, v1
	s_waitcnt lgkmcnt(0)
	v_cmp_lt_f16_e32 vcc_lo, v1, v2
	v_cndmask_b32_e64 v1, 0, 1, vcc_lo
.LBB68_4:
	s_or_b32 exec_lo, exec_lo, s0
	s_mov_b32 s4, -1
	s_mov_b32 s0, exec_lo
	ds_write_b16 v3, v2 offset:512
	s_waitcnt lgkmcnt(0)
	s_barrier
	buffer_gl0_inv
	v_cmpx_ne_u32_e32 0xff, v0
	s_cbranch_execz .LBB68_6
; %bb.5:
	ds_read_u16 v4, v3 offset:514
	s_waitcnt lgkmcnt(0)
	v_cmp_gt_f16_e32 vcc_lo, v4, v2
	s_orn2_b32 s4, vcc_lo, exec_lo
.LBB68_6:
	s_or_b32 exec_lo, exec_lo, s0
.LBB68_7:
	s_cbranch_execz .LBB68_15
	s_branch .LBB68_27
.LBB68_8:
                                        ; implicit-def: $sgpr4
                                        ; implicit-def: $vgpr1
	s_branch .LBB68_15
.LBB68_9:
                                        ; implicit-def: $sgpr4
                                        ; implicit-def: $vgpr1
	s_cbranch_execz .LBB68_7
; %bb.10:
	s_add_i32 s4, s12, -1
	s_mov_b32 s5, 0
	v_mov_b32_e32 v1, 0
	s_lshl_b64 s[4:5], s[4:5], 1
	s_mov_b32 s0, exec_lo
	s_add_u32 s4, s8, s4
	s_addc_u32 s5, s9, s5
	s_waitcnt vmcnt(0)
	ds_write_b16 v3, v2
	global_load_ushort v1, v1, s[4:5]
	s_mov_b32 s4, -1
	s_waitcnt vmcnt(0) lgkmcnt(0)
	s_barrier
	buffer_gl0_inv
	v_cmpx_ne_u32_e32 0, v0
; %bb.11:
	v_add_nc_u32_e32 v1, -2, v3
	ds_read_u16 v1, v1
; %bb.12:
	s_or_b32 exec_lo, exec_lo, s0
	s_mov_b32 s5, exec_lo
	s_waitcnt lgkmcnt(0)
	v_cmp_lt_f16_e32 vcc_lo, v1, v2
	ds_write_b16 v3, v2 offset:512
	s_waitcnt lgkmcnt(0)
	s_barrier
	buffer_gl0_inv
	v_cmpx_ne_u32_e32 0xff, v0
	s_cbranch_execz .LBB68_14
; %bb.13:
	ds_read_u16 v1, v3 offset:514
	s_waitcnt lgkmcnt(0)
	v_cmp_gt_f16_e64 s0, v1, v2
	s_orn2_b32 s4, s0, exec_lo
.LBB68_14:
	s_or_b32 exec_lo, exec_lo, s5
	v_cndmask_b32_e64 v1, 0, 1, vcc_lo
	s_cbranch_execnz .LBB68_27
.LBB68_15:
	s_cmp_eq_u32 s1, 1
	v_cmp_ne_u32_e32 vcc_lo, 0, v0
	s_cbranch_scc1 .LBB68_21
; %bb.16:
	s_add_i32 s0, s12, 0x100
	s_mov_b32 s1, 0
	v_mov_b32_e32 v1, 0
	s_lshl_b64 s[0:1], s[0:1], 1
	s_waitcnt vmcnt(0)
	ds_write_b16 v3, v2
	s_add_u32 s0, s8, s0
	s_addc_u32 s1, s9, s1
	global_load_ushort v4, v1, s[0:1]
	v_mov_b32_e32 v1, 1
	s_waitcnt vmcnt(0) lgkmcnt(0)
	s_barrier
	buffer_gl0_inv
	s_and_saveexec_b32 s0, vcc_lo
	s_cbranch_execz .LBB68_18
; %bb.17:
	v_add_nc_u32_e32 v1, -2, v3
	ds_read_u16 v1, v1
	s_waitcnt lgkmcnt(0)
	v_cmp_lt_f16_e32 vcc_lo, v1, v2
	v_cndmask_b32_e64 v1, 0, 1, vcc_lo
.LBB68_18:
	s_or_b32 exec_lo, exec_lo, s0
	s_mov_b32 s0, exec_lo
	ds_write_b16 v3, v2 offset:512
	s_waitcnt lgkmcnt(0)
	s_barrier
	buffer_gl0_inv
	v_cmpx_ne_u32_e32 0xff, v0
; %bb.19:
	ds_read_u16 v4, v3 offset:514
; %bb.20:
	s_or_b32 exec_lo, exec_lo, s0
	s_waitcnt lgkmcnt(0)
	v_cmp_gt_f16_e64 s4, v4, v2
	s_branch .LBB68_27
.LBB68_21:
                                        ; implicit-def: $sgpr4
                                        ; implicit-def: $vgpr1
	s_cbranch_execz .LBB68_27
; %bb.22:
	s_add_i32 s0, s12, -1
	s_mov_b32 s1, 0
	v_mov_b32_e32 v4, 0
	s_lshl_b64 s[4:5], s[0:1], 1
	s_add_u32 s4, s8, s4
	s_addc_u32 s5, s9, s5
	s_add_i32 s0, s12, 0x100
	s_lshl_b64 s[0:1], s[0:1], 1
	s_add_u32 s0, s8, s0
	s_addc_u32 s1, s9, s1
	s_clause 0x1
	global_load_ushort v1, v4, s[4:5]
	global_load_ushort v4, v4, s[0:1]
	s_mov_b32 s0, exec_lo
	s_waitcnt vmcnt(2)
	ds_write_b16 v3, v2
	s_waitcnt vmcnt(0) lgkmcnt(0)
	s_barrier
	buffer_gl0_inv
	v_cmpx_ne_u32_e32 0, v0
; %bb.23:
	v_add_nc_u32_e32 v1, -2, v3
	ds_read_u16 v1, v1
; %bb.24:
	s_or_b32 exec_lo, exec_lo, s0
	s_mov_b32 s0, exec_lo
	ds_write_b16 v3, v2 offset:512
	s_waitcnt lgkmcnt(0)
	s_barrier
	buffer_gl0_inv
	v_cmpx_ne_u32_e32 0xff, v0
; %bb.25:
	ds_read_u16 v4, v3 offset:514
; %bb.26:
	s_or_b32 exec_lo, exec_lo, s0
	v_cmp_lt_f16_e32 vcc_lo, v1, v2
	s_waitcnt lgkmcnt(0)
	v_cmp_gt_f16_e64 s4, v4, v2
	v_cndmask_b32_e64 v1, 0, 1, vcc_lo
.LBB68_27:
	s_lshl_b64 s[0:1], s[12:13], 3
	s_mov_b32 s5, 0
	v_lshlrev_b32_e32 v0, 3, v0
	s_waitcnt vmcnt(0)
	v_mov_b32_e32 v2, 0
	s_add_u32 s6, s10, s0
	v_cndmask_b32_e64 v3, 0, 1, s4
	v_mov_b32_e32 v4, s5
	s_addc_u32 s7, s11, s1
	s_add_u32 s0, s2, s0
	s_addc_u32 s1, s3, s1
	global_store_dwordx2 v0, v[1:2], s[6:7]
	global_store_dwordx2 v0, v[3:4], s[0:1]
	s_endpgm
	.section	.rodata,"a",@progbits
	.p2align	6, 0x0
	.amdhsa_kernel _Z27flag_heads_and_tails_kernelI6__halfiN10test_utils4lessELj256ELj1EEvPT_PxS5_
		.amdhsa_group_segment_fixed_size 1024
		.amdhsa_private_segment_fixed_size 0
		.amdhsa_kernarg_size 24
		.amdhsa_user_sgpr_count 6
		.amdhsa_user_sgpr_private_segment_buffer 1
		.amdhsa_user_sgpr_dispatch_ptr 0
		.amdhsa_user_sgpr_queue_ptr 0
		.amdhsa_user_sgpr_kernarg_segment_ptr 1
		.amdhsa_user_sgpr_dispatch_id 0
		.amdhsa_user_sgpr_flat_scratch_init 0
		.amdhsa_user_sgpr_private_segment_size 0
		.amdhsa_wavefront_size32 1
		.amdhsa_uses_dynamic_stack 0
		.amdhsa_system_sgpr_private_segment_wavefront_offset 0
		.amdhsa_system_sgpr_workgroup_id_x 1
		.amdhsa_system_sgpr_workgroup_id_y 0
		.amdhsa_system_sgpr_workgroup_id_z 0
		.amdhsa_system_sgpr_workgroup_info 0
		.amdhsa_system_vgpr_workitem_id 0
		.amdhsa_next_free_vgpr 5
		.amdhsa_next_free_sgpr 14
		.amdhsa_reserve_vcc 1
		.amdhsa_reserve_flat_scratch 0
		.amdhsa_float_round_mode_32 0
		.amdhsa_float_round_mode_16_64 0
		.amdhsa_float_denorm_mode_32 3
		.amdhsa_float_denorm_mode_16_64 3
		.amdhsa_dx10_clamp 1
		.amdhsa_ieee_mode 1
		.amdhsa_fp16_overflow 0
		.amdhsa_workgroup_processor_mode 1
		.amdhsa_memory_ordered 1
		.amdhsa_forward_progress 1
		.amdhsa_shared_vgpr_count 0
		.amdhsa_exception_fp_ieee_invalid_op 0
		.amdhsa_exception_fp_denorm_src 0
		.amdhsa_exception_fp_ieee_div_zero 0
		.amdhsa_exception_fp_ieee_overflow 0
		.amdhsa_exception_fp_ieee_underflow 0
		.amdhsa_exception_fp_ieee_inexact 0
		.amdhsa_exception_int_div_zero 0
	.end_amdhsa_kernel
	.section	.text._Z27flag_heads_and_tails_kernelI6__halfiN10test_utils4lessELj256ELj1EEvPT_PxS5_,"axG",@progbits,_Z27flag_heads_and_tails_kernelI6__halfiN10test_utils4lessELj256ELj1EEvPT_PxS5_,comdat
.Lfunc_end68:
	.size	_Z27flag_heads_and_tails_kernelI6__halfiN10test_utils4lessELj256ELj1EEvPT_PxS5_, .Lfunc_end68-_Z27flag_heads_and_tails_kernelI6__halfiN10test_utils4lessELj256ELj1EEvPT_PxS5_
                                        ; -- End function
	.set _Z27flag_heads_and_tails_kernelI6__halfiN10test_utils4lessELj256ELj1EEvPT_PxS5_.num_vgpr, 5
	.set _Z27flag_heads_and_tails_kernelI6__halfiN10test_utils4lessELj256ELj1EEvPT_PxS5_.num_agpr, 0
	.set _Z27flag_heads_and_tails_kernelI6__halfiN10test_utils4lessELj256ELj1EEvPT_PxS5_.numbered_sgpr, 14
	.set _Z27flag_heads_and_tails_kernelI6__halfiN10test_utils4lessELj256ELj1EEvPT_PxS5_.num_named_barrier, 0
	.set _Z27flag_heads_and_tails_kernelI6__halfiN10test_utils4lessELj256ELj1EEvPT_PxS5_.private_seg_size, 0
	.set _Z27flag_heads_and_tails_kernelI6__halfiN10test_utils4lessELj256ELj1EEvPT_PxS5_.uses_vcc, 1
	.set _Z27flag_heads_and_tails_kernelI6__halfiN10test_utils4lessELj256ELj1EEvPT_PxS5_.uses_flat_scratch, 0
	.set _Z27flag_heads_and_tails_kernelI6__halfiN10test_utils4lessELj256ELj1EEvPT_PxS5_.has_dyn_sized_stack, 0
	.set _Z27flag_heads_and_tails_kernelI6__halfiN10test_utils4lessELj256ELj1EEvPT_PxS5_.has_recursion, 0
	.set _Z27flag_heads_and_tails_kernelI6__halfiN10test_utils4lessELj256ELj1EEvPT_PxS5_.has_indirect_call, 0
	.section	.AMDGPU.csdata,"",@progbits
; Kernel info:
; codeLenInByte = 856
; TotalNumSgprs: 16
; NumVgprs: 5
; ScratchSize: 0
; MemoryBound: 0
; FloatMode: 240
; IeeeMode: 1
; LDSByteSize: 1024 bytes/workgroup (compile time only)
; SGPRBlocks: 0
; VGPRBlocks: 0
; NumSGPRsForWavesPerEU: 16
; NumVGPRsForWavesPerEU: 5
; Occupancy: 16
; WaveLimiterHint : 0
; COMPUTE_PGM_RSRC2:SCRATCH_EN: 0
; COMPUTE_PGM_RSRC2:USER_SGPR: 6
; COMPUTE_PGM_RSRC2:TRAP_HANDLER: 0
; COMPUTE_PGM_RSRC2:TGID_X_EN: 1
; COMPUTE_PGM_RSRC2:TGID_Y_EN: 0
; COMPUTE_PGM_RSRC2:TGID_Z_EN: 0
; COMPUTE_PGM_RSRC2:TIDIG_COMP_CNT: 0
	.section	.text._Z27flag_heads_and_tails_kernelIfiN10test_utils4lessELj256ELj1EEvPT_PxS4_,"axG",@progbits,_Z27flag_heads_and_tails_kernelIfiN10test_utils4lessELj256ELj1EEvPT_PxS4_,comdat
	.protected	_Z27flag_heads_and_tails_kernelIfiN10test_utils4lessELj256ELj1EEvPT_PxS4_ ; -- Begin function _Z27flag_heads_and_tails_kernelIfiN10test_utils4lessELj256ELj1EEvPT_PxS4_
	.globl	_Z27flag_heads_and_tails_kernelIfiN10test_utils4lessELj256ELj1EEvPT_PxS4_
	.p2align	8
	.type	_Z27flag_heads_and_tails_kernelIfiN10test_utils4lessELj256ELj1EEvPT_PxS4_,@function
_Z27flag_heads_and_tails_kernelIfiN10test_utils4lessELj256ELj1EEvPT_PxS4_: ; @_Z27flag_heads_and_tails_kernelIfiN10test_utils4lessELj256ELj1EEvPT_PxS4_
; %bb.0:
	s_clause 0x1
	s_load_dwordx4 s[8:11], s[4:5], 0x0
	s_load_dwordx2 s[2:3], s[4:5], 0x10
	s_lshl_b32 s12, s6, 8
	s_mov_b32 s13, 0
	v_lshlrev_b32_e32 v3, 2, v0
	s_lshl_b64 s[0:1], s[12:13], 2
	s_waitcnt lgkmcnt(0)
	s_add_u32 s0, s8, s0
	s_addc_u32 s1, s9, s1
	global_load_dword v2, v3, s[0:1]
	s_and_b32 s1, s6, 3
	s_cmp_lt_i32 s1, 2
	s_cbranch_scc1 .LBB69_8
; %bb.1:
	s_cmp_gt_i32 s1, 2
	s_cbranch_scc0 .LBB69_9
; %bb.2:
	v_mov_b32_e32 v1, 1
	s_mov_b32 s0, exec_lo
	s_waitcnt vmcnt(0)
	ds_write_b32 v3, v2
	s_waitcnt lgkmcnt(0)
	s_barrier
	buffer_gl0_inv
	v_cmpx_ne_u32_e32 0, v0
	s_cbranch_execz .LBB69_4
; %bb.3:
	v_add_nc_u32_e32 v1, -4, v3
	ds_read_b32 v1, v1
	s_waitcnt lgkmcnt(0)
	v_cmp_lt_f32_e32 vcc_lo, v1, v2
	v_cndmask_b32_e64 v1, 0, 1, vcc_lo
.LBB69_4:
	s_or_b32 exec_lo, exec_lo, s0
	s_mov_b32 s4, -1
	s_mov_b32 s0, exec_lo
	ds_write_b32 v3, v2 offset:1024
	s_waitcnt lgkmcnt(0)
	s_barrier
	buffer_gl0_inv
	v_cmpx_ne_u32_e32 0xff, v0
	s_cbranch_execz .LBB69_6
; %bb.5:
	ds_read_b32 v4, v3 offset:1028
	s_waitcnt lgkmcnt(0)
	v_cmp_lt_f32_e32 vcc_lo, v2, v4
	s_orn2_b32 s4, vcc_lo, exec_lo
.LBB69_6:
	s_or_b32 exec_lo, exec_lo, s0
.LBB69_7:
	s_cbranch_execz .LBB69_15
	s_branch .LBB69_27
.LBB69_8:
                                        ; implicit-def: $sgpr4
                                        ; implicit-def: $vgpr1
	s_branch .LBB69_15
.LBB69_9:
                                        ; implicit-def: $sgpr4
                                        ; implicit-def: $vgpr1
	s_cbranch_execz .LBB69_7
; %bb.10:
	s_add_i32 s4, s12, -1
	s_mov_b32 s5, 0
	s_waitcnt vmcnt(0)
	ds_write_b32 v3, v2
	s_lshl_b64 s[4:5], s[4:5], 2
	s_add_u32 s4, s8, s4
	s_addc_u32 s5, s9, s5
	s_load_dword s0, s[4:5], 0x0
	s_mov_b32 s4, -1
	s_waitcnt lgkmcnt(0)
	s_barrier
	buffer_gl0_inv
	v_mov_b32_e32 v1, s0
	s_mov_b32 s0, exec_lo
	v_cmpx_ne_u32_e32 0, v0
; %bb.11:
	v_add_nc_u32_e32 v1, -4, v3
	ds_read_b32 v1, v1
; %bb.12:
	s_or_b32 exec_lo, exec_lo, s0
	s_mov_b32 s5, exec_lo
	s_waitcnt lgkmcnt(0)
	v_cmp_lt_f32_e32 vcc_lo, v1, v2
	ds_write_b32 v3, v2 offset:1024
	s_waitcnt lgkmcnt(0)
	s_barrier
	buffer_gl0_inv
	v_cmpx_ne_u32_e32 0xff, v0
	s_cbranch_execz .LBB69_14
; %bb.13:
	ds_read_b32 v1, v3 offset:1028
	s_waitcnt lgkmcnt(0)
	v_cmp_lt_f32_e64 s0, v2, v1
	s_orn2_b32 s4, s0, exec_lo
.LBB69_14:
	s_or_b32 exec_lo, exec_lo, s5
	v_cndmask_b32_e64 v1, 0, 1, vcc_lo
	s_cbranch_execnz .LBB69_27
.LBB69_15:
	s_cmp_eq_u32 s1, 1
	v_cmp_ne_u32_e32 vcc_lo, 0, v0
	s_cbranch_scc1 .LBB69_21
; %bb.16:
	s_add_i32 s0, s12, 0x100
	s_mov_b32 s1, 0
	v_mov_b32_e32 v1, 1
	s_lshl_b64 s[0:1], s[0:1], 2
	s_waitcnt vmcnt(0)
	ds_write_b32 v3, v2
	s_add_u32 s0, s8, s0
	s_addc_u32 s1, s9, s1
	s_load_dword s0, s[0:1], 0x0
	s_waitcnt lgkmcnt(0)
	s_barrier
	buffer_gl0_inv
	s_and_saveexec_b32 s1, vcc_lo
	s_cbranch_execz .LBB69_18
; %bb.17:
	v_add_nc_u32_e32 v1, -4, v3
	ds_read_b32 v1, v1
	s_waitcnt lgkmcnt(0)
	v_cmp_lt_f32_e32 vcc_lo, v1, v2
	v_cndmask_b32_e64 v1, 0, 1, vcc_lo
.LBB69_18:
	s_or_b32 exec_lo, exec_lo, s1
	v_mov_b32_e32 v4, s0
	s_mov_b32 s0, exec_lo
	ds_write_b32 v3, v2 offset:1024
	s_waitcnt lgkmcnt(0)
	s_barrier
	buffer_gl0_inv
	v_cmpx_ne_u32_e32 0xff, v0
; %bb.19:
	ds_read_b32 v4, v3 offset:1028
; %bb.20:
	s_or_b32 exec_lo, exec_lo, s0
	s_waitcnt lgkmcnt(0)
	v_cmp_lt_f32_e64 s4, v2, v4
	s_branch .LBB69_27
.LBB69_21:
                                        ; implicit-def: $sgpr4
                                        ; implicit-def: $vgpr1
	s_cbranch_execz .LBB69_27
; %bb.22:
	s_add_i32 s0, s12, -1
	s_mov_b32 s1, 0
	s_waitcnt vmcnt(0)
	ds_write_b32 v3, v2
	s_lshl_b64 s[4:5], s[0:1], 2
	s_add_u32 s4, s8, s4
	s_addc_u32 s5, s9, s5
	s_add_i32 s0, s12, 0x100
	s_load_dword s4, s[4:5], 0x0
	s_lshl_b64 s[0:1], s[0:1], 2
	s_add_u32 s0, s8, s0
	s_addc_u32 s1, s9, s1
	s_load_dword s0, s[0:1], 0x0
	s_mov_b32 s1, exec_lo
	s_waitcnt lgkmcnt(0)
	s_barrier
	buffer_gl0_inv
	v_mov_b32_e32 v1, s4
	v_cmpx_ne_u32_e32 0, v0
; %bb.23:
	v_add_nc_u32_e32 v1, -4, v3
	ds_read_b32 v1, v1
; %bb.24:
	s_or_b32 exec_lo, exec_lo, s1
	v_mov_b32_e32 v4, s0
	s_mov_b32 s0, exec_lo
	ds_write_b32 v3, v2 offset:1024
	s_waitcnt lgkmcnt(0)
	s_barrier
	buffer_gl0_inv
	v_cmpx_ne_u32_e32 0xff, v0
; %bb.25:
	ds_read_b32 v4, v3 offset:1028
; %bb.26:
	s_or_b32 exec_lo, exec_lo, s0
	v_cmp_lt_f32_e32 vcc_lo, v1, v2
	s_waitcnt lgkmcnt(0)
	v_cmp_lt_f32_e64 s4, v2, v4
	v_cndmask_b32_e64 v1, 0, 1, vcc_lo
.LBB69_27:
	s_lshl_b64 s[0:1], s[12:13], 3
	s_mov_b32 s5, 0
	v_lshlrev_b32_e32 v0, 3, v0
	s_waitcnt vmcnt(0)
	v_mov_b32_e32 v2, 0
	s_add_u32 s6, s10, s0
	v_cndmask_b32_e64 v3, 0, 1, s4
	v_mov_b32_e32 v4, s5
	s_addc_u32 s7, s11, s1
	s_add_u32 s0, s2, s0
	s_addc_u32 s1, s3, s1
	global_store_dwordx2 v0, v[1:2], s[6:7]
	global_store_dwordx2 v0, v[3:4], s[0:1]
	s_endpgm
	.section	.rodata,"a",@progbits
	.p2align	6, 0x0
	.amdhsa_kernel _Z27flag_heads_and_tails_kernelIfiN10test_utils4lessELj256ELj1EEvPT_PxS4_
		.amdhsa_group_segment_fixed_size 2048
		.amdhsa_private_segment_fixed_size 0
		.amdhsa_kernarg_size 24
		.amdhsa_user_sgpr_count 6
		.amdhsa_user_sgpr_private_segment_buffer 1
		.amdhsa_user_sgpr_dispatch_ptr 0
		.amdhsa_user_sgpr_queue_ptr 0
		.amdhsa_user_sgpr_kernarg_segment_ptr 1
		.amdhsa_user_sgpr_dispatch_id 0
		.amdhsa_user_sgpr_flat_scratch_init 0
		.amdhsa_user_sgpr_private_segment_size 0
		.amdhsa_wavefront_size32 1
		.amdhsa_uses_dynamic_stack 0
		.amdhsa_system_sgpr_private_segment_wavefront_offset 0
		.amdhsa_system_sgpr_workgroup_id_x 1
		.amdhsa_system_sgpr_workgroup_id_y 0
		.amdhsa_system_sgpr_workgroup_id_z 0
		.amdhsa_system_sgpr_workgroup_info 0
		.amdhsa_system_vgpr_workitem_id 0
		.amdhsa_next_free_vgpr 5
		.amdhsa_next_free_sgpr 14
		.amdhsa_reserve_vcc 1
		.amdhsa_reserve_flat_scratch 0
		.amdhsa_float_round_mode_32 0
		.amdhsa_float_round_mode_16_64 0
		.amdhsa_float_denorm_mode_32 3
		.amdhsa_float_denorm_mode_16_64 3
		.amdhsa_dx10_clamp 1
		.amdhsa_ieee_mode 1
		.amdhsa_fp16_overflow 0
		.amdhsa_workgroup_processor_mode 1
		.amdhsa_memory_ordered 1
		.amdhsa_forward_progress 1
		.amdhsa_shared_vgpr_count 0
		.amdhsa_exception_fp_ieee_invalid_op 0
		.amdhsa_exception_fp_denorm_src 0
		.amdhsa_exception_fp_ieee_div_zero 0
		.amdhsa_exception_fp_ieee_overflow 0
		.amdhsa_exception_fp_ieee_underflow 0
		.amdhsa_exception_fp_ieee_inexact 0
		.amdhsa_exception_int_div_zero 0
	.end_amdhsa_kernel
	.section	.text._Z27flag_heads_and_tails_kernelIfiN10test_utils4lessELj256ELj1EEvPT_PxS4_,"axG",@progbits,_Z27flag_heads_and_tails_kernelIfiN10test_utils4lessELj256ELj1EEvPT_PxS4_,comdat
.Lfunc_end69:
	.size	_Z27flag_heads_and_tails_kernelIfiN10test_utils4lessELj256ELj1EEvPT_PxS4_, .Lfunc_end69-_Z27flag_heads_and_tails_kernelIfiN10test_utils4lessELj256ELj1EEvPT_PxS4_
                                        ; -- End function
	.set _Z27flag_heads_and_tails_kernelIfiN10test_utils4lessELj256ELj1EEvPT_PxS4_.num_vgpr, 5
	.set _Z27flag_heads_and_tails_kernelIfiN10test_utils4lessELj256ELj1EEvPT_PxS4_.num_agpr, 0
	.set _Z27flag_heads_and_tails_kernelIfiN10test_utils4lessELj256ELj1EEvPT_PxS4_.numbered_sgpr, 14
	.set _Z27flag_heads_and_tails_kernelIfiN10test_utils4lessELj256ELj1EEvPT_PxS4_.num_named_barrier, 0
	.set _Z27flag_heads_and_tails_kernelIfiN10test_utils4lessELj256ELj1EEvPT_PxS4_.private_seg_size, 0
	.set _Z27flag_heads_and_tails_kernelIfiN10test_utils4lessELj256ELj1EEvPT_PxS4_.uses_vcc, 1
	.set _Z27flag_heads_and_tails_kernelIfiN10test_utils4lessELj256ELj1EEvPT_PxS4_.uses_flat_scratch, 0
	.set _Z27flag_heads_and_tails_kernelIfiN10test_utils4lessELj256ELj1EEvPT_PxS4_.has_dyn_sized_stack, 0
	.set _Z27flag_heads_and_tails_kernelIfiN10test_utils4lessELj256ELj1EEvPT_PxS4_.has_recursion, 0
	.set _Z27flag_heads_and_tails_kernelIfiN10test_utils4lessELj256ELj1EEvPT_PxS4_.has_indirect_call, 0
	.section	.AMDGPU.csdata,"",@progbits
; Kernel info:
; codeLenInByte = 856
; TotalNumSgprs: 16
; NumVgprs: 5
; ScratchSize: 0
; MemoryBound: 0
; FloatMode: 240
; IeeeMode: 1
; LDSByteSize: 2048 bytes/workgroup (compile time only)
; SGPRBlocks: 0
; VGPRBlocks: 0
; NumSGPRsForWavesPerEU: 16
; NumVGPRsForWavesPerEU: 5
; Occupancy: 16
; WaveLimiterHint : 0
; COMPUTE_PGM_RSRC2:SCRATCH_EN: 0
; COMPUTE_PGM_RSRC2:USER_SGPR: 6
; COMPUTE_PGM_RSRC2:TRAP_HANDLER: 0
; COMPUTE_PGM_RSRC2:TGID_X_EN: 1
; COMPUTE_PGM_RSRC2:TGID_Y_EN: 0
; COMPUTE_PGM_RSRC2:TGID_Z_EN: 0
; COMPUTE_PGM_RSRC2:TIDIG_COMP_CNT: 0
	.section	.text._Z27flag_heads_and_tails_kernelIibN6hipcub10InequalityELj128ELj1EEvPT_PxS4_,"axG",@progbits,_Z27flag_heads_and_tails_kernelIibN6hipcub10InequalityELj128ELj1EEvPT_PxS4_,comdat
	.protected	_Z27flag_heads_and_tails_kernelIibN6hipcub10InequalityELj128ELj1EEvPT_PxS4_ ; -- Begin function _Z27flag_heads_and_tails_kernelIibN6hipcub10InequalityELj128ELj1EEvPT_PxS4_
	.globl	_Z27flag_heads_and_tails_kernelIibN6hipcub10InequalityELj128ELj1EEvPT_PxS4_
	.p2align	8
	.type	_Z27flag_heads_and_tails_kernelIibN6hipcub10InequalityELj128ELj1EEvPT_PxS4_,@function
_Z27flag_heads_and_tails_kernelIibN6hipcub10InequalityELj128ELj1EEvPT_PxS4_: ; @_Z27flag_heads_and_tails_kernelIibN6hipcub10InequalityELj128ELj1EEvPT_PxS4_
; %bb.0:
	s_clause 0x1
	s_load_dwordx4 s[8:11], s[4:5], 0x0
	s_load_dwordx2 s[2:3], s[4:5], 0x10
	s_lshl_b32 s12, s6, 7
	s_mov_b32 s13, 0
	v_lshlrev_b32_e32 v2, 2, v0
	s_lshl_b64 s[0:1], s[12:13], 2
	s_waitcnt lgkmcnt(0)
	s_add_u32 s0, s8, s0
	s_addc_u32 s1, s9, s1
	global_load_dword v1, v2, s[0:1]
	s_and_b32 s1, s6, 3
	s_cmp_lt_i32 s1, 2
	s_cbranch_scc1 .LBB70_8
; %bb.1:
	s_cmp_gt_i32 s1, 2
	s_cbranch_scc0 .LBB70_9
; %bb.2:
	v_mov_b32_e32 v3, 1
	s_mov_b32 s0, exec_lo
	s_waitcnt vmcnt(0)
	ds_write_b32 v2, v1
	s_waitcnt lgkmcnt(0)
	s_barrier
	buffer_gl0_inv
	v_cmpx_ne_u32_e32 0, v0
	s_cbranch_execz .LBB70_4
; %bb.3:
	v_add_nc_u32_e32 v3, -4, v2
	ds_read_b32 v3, v3
	s_waitcnt lgkmcnt(0)
	v_cmp_ne_u32_e32 vcc_lo, v3, v1
	v_cndmask_b32_e64 v3, 0, 1, vcc_lo
.LBB70_4:
	s_or_b32 exec_lo, exec_lo, s0
	s_mov_b32 s4, -1
	s_mov_b32 s0, exec_lo
	ds_write_b32 v2, v1 offset:512
	s_waitcnt lgkmcnt(0)
	s_barrier
	buffer_gl0_inv
	v_cmpx_ne_u32_e32 0x7f, v0
	s_cbranch_execz .LBB70_6
; %bb.5:
	ds_read_b32 v4, v2 offset:516
	s_waitcnt lgkmcnt(0)
	v_cmp_ne_u32_e32 vcc_lo, v1, v4
	s_orn2_b32 s4, vcc_lo, exec_lo
.LBB70_6:
	s_or_b32 exec_lo, exec_lo, s0
.LBB70_7:
	s_cbranch_execz .LBB70_15
	s_branch .LBB70_27
.LBB70_8:
                                        ; implicit-def: $sgpr4
                                        ; implicit-def: $vgpr3
	s_branch .LBB70_15
.LBB70_9:
                                        ; implicit-def: $sgpr4
                                        ; implicit-def: $vgpr3
	s_cbranch_execz .LBB70_7
; %bb.10:
	s_add_i32 s4, s12, -1
	s_mov_b32 s5, 0
	s_waitcnt vmcnt(0)
	ds_write_b32 v2, v1
	s_lshl_b64 s[4:5], s[4:5], 2
	s_add_u32 s4, s8, s4
	s_addc_u32 s5, s9, s5
	s_load_dword s0, s[4:5], 0x0
	s_mov_b32 s4, -1
	s_waitcnt lgkmcnt(0)
	s_barrier
	buffer_gl0_inv
	v_mov_b32_e32 v3, s0
	s_mov_b32 s0, exec_lo
	v_cmpx_ne_u32_e32 0, v0
; %bb.11:
	v_add_nc_u32_e32 v3, -4, v2
	ds_read_b32 v3, v3
; %bb.12:
	s_or_b32 exec_lo, exec_lo, s0
	s_mov_b32 s5, exec_lo
	s_waitcnt lgkmcnt(0)
	v_cmp_ne_u32_e32 vcc_lo, v3, v1
	ds_write_b32 v2, v1 offset:512
	s_waitcnt lgkmcnt(0)
	s_barrier
	buffer_gl0_inv
	v_cmpx_ne_u32_e32 0x7f, v0
	s_cbranch_execz .LBB70_14
; %bb.13:
	ds_read_b32 v3, v2 offset:516
	s_waitcnt lgkmcnt(0)
	v_cmp_ne_u32_e64 s0, v1, v3
	s_orn2_b32 s4, s0, exec_lo
.LBB70_14:
	s_or_b32 exec_lo, exec_lo, s5
	v_cndmask_b32_e64 v3, 0, 1, vcc_lo
	s_cbranch_execnz .LBB70_27
.LBB70_15:
	s_cmp_eq_u32 s1, 1
	v_cmp_ne_u32_e32 vcc_lo, 0, v0
	s_cbranch_scc1 .LBB70_21
; %bb.16:
	s_add_i32 s0, s12, 0x80
	s_mov_b32 s1, 0
	v_mov_b32_e32 v3, 1
	s_lshl_b64 s[0:1], s[0:1], 2
	s_waitcnt vmcnt(0)
	ds_write_b32 v2, v1
	s_add_u32 s0, s8, s0
	s_addc_u32 s1, s9, s1
	s_load_dword s0, s[0:1], 0x0
	s_waitcnt lgkmcnt(0)
	s_barrier
	buffer_gl0_inv
	s_and_saveexec_b32 s1, vcc_lo
	s_cbranch_execz .LBB70_18
; %bb.17:
	v_add_nc_u32_e32 v3, -4, v2
	ds_read_b32 v3, v3
	s_waitcnt lgkmcnt(0)
	v_cmp_ne_u32_e32 vcc_lo, v3, v1
	v_cndmask_b32_e64 v3, 0, 1, vcc_lo
.LBB70_18:
	s_or_b32 exec_lo, exec_lo, s1
	v_mov_b32_e32 v4, s0
	s_mov_b32 s0, exec_lo
	ds_write_b32 v2, v1 offset:512
	s_waitcnt lgkmcnt(0)
	s_barrier
	buffer_gl0_inv
	v_cmpx_ne_u32_e32 0x7f, v0
; %bb.19:
	ds_read_b32 v4, v2 offset:516
; %bb.20:
	s_or_b32 exec_lo, exec_lo, s0
	s_waitcnt lgkmcnt(0)
	v_cmp_ne_u32_e64 s4, v1, v4
	s_branch .LBB70_27
.LBB70_21:
                                        ; implicit-def: $sgpr4
                                        ; implicit-def: $vgpr3
	s_cbranch_execz .LBB70_27
; %bb.22:
	s_add_i32 s0, s12, -1
	s_mov_b32 s1, 0
	s_waitcnt vmcnt(0)
	ds_write_b32 v2, v1
	s_lshl_b64 s[4:5], s[0:1], 2
	s_add_u32 s4, s8, s4
	s_addc_u32 s5, s9, s5
	s_add_i32 s0, s12, 0x80
	s_load_dword s4, s[4:5], 0x0
	s_lshl_b64 s[0:1], s[0:1], 2
	s_add_u32 s0, s8, s0
	s_addc_u32 s1, s9, s1
	s_load_dword s0, s[0:1], 0x0
	s_mov_b32 s1, exec_lo
	s_waitcnt lgkmcnt(0)
	s_barrier
	buffer_gl0_inv
	v_mov_b32_e32 v3, s4
	v_cmpx_ne_u32_e32 0, v0
; %bb.23:
	v_add_nc_u32_e32 v3, -4, v2
	ds_read_b32 v3, v3
; %bb.24:
	s_or_b32 exec_lo, exec_lo, s1
	v_mov_b32_e32 v4, s0
	s_mov_b32 s0, exec_lo
	ds_write_b32 v2, v1 offset:512
	s_waitcnt lgkmcnt(0)
	s_barrier
	buffer_gl0_inv
	v_cmpx_ne_u32_e32 0x7f, v0
; %bb.25:
	ds_read_b32 v4, v2 offset:516
; %bb.26:
	s_or_b32 exec_lo, exec_lo, s0
	v_cmp_ne_u32_e32 vcc_lo, v3, v1
	s_waitcnt lgkmcnt(0)
	v_cmp_ne_u32_e64 s4, v1, v4
	v_cndmask_b32_e64 v3, 0, 1, vcc_lo
.LBB70_27:
	s_lshl_b64 s[0:1], s[12:13], 3
	s_mov_b32 s5, 0
	v_lshlrev_b32_e32 v4, 3, v0
	v_and_b32_e32 v0, 0xff, v3
	s_waitcnt vmcnt(0)
	v_mov_b32_e32 v1, 0
	s_add_u32 s6, s10, s0
	v_cndmask_b32_e64 v2, 0, 1, s4
	v_mov_b32_e32 v3, s5
	s_addc_u32 s7, s11, s1
	s_add_u32 s0, s2, s0
	s_addc_u32 s1, s3, s1
	global_store_dwordx2 v4, v[0:1], s[6:7]
	global_store_dwordx2 v4, v[2:3], s[0:1]
	s_endpgm
	.section	.rodata,"a",@progbits
	.p2align	6, 0x0
	.amdhsa_kernel _Z27flag_heads_and_tails_kernelIibN6hipcub10InequalityELj128ELj1EEvPT_PxS4_
		.amdhsa_group_segment_fixed_size 1024
		.amdhsa_private_segment_fixed_size 0
		.amdhsa_kernarg_size 24
		.amdhsa_user_sgpr_count 6
		.amdhsa_user_sgpr_private_segment_buffer 1
		.amdhsa_user_sgpr_dispatch_ptr 0
		.amdhsa_user_sgpr_queue_ptr 0
		.amdhsa_user_sgpr_kernarg_segment_ptr 1
		.amdhsa_user_sgpr_dispatch_id 0
		.amdhsa_user_sgpr_flat_scratch_init 0
		.amdhsa_user_sgpr_private_segment_size 0
		.amdhsa_wavefront_size32 1
		.amdhsa_uses_dynamic_stack 0
		.amdhsa_system_sgpr_private_segment_wavefront_offset 0
		.amdhsa_system_sgpr_workgroup_id_x 1
		.amdhsa_system_sgpr_workgroup_id_y 0
		.amdhsa_system_sgpr_workgroup_id_z 0
		.amdhsa_system_sgpr_workgroup_info 0
		.amdhsa_system_vgpr_workitem_id 0
		.amdhsa_next_free_vgpr 5
		.amdhsa_next_free_sgpr 14
		.amdhsa_reserve_vcc 1
		.amdhsa_reserve_flat_scratch 0
		.amdhsa_float_round_mode_32 0
		.amdhsa_float_round_mode_16_64 0
		.amdhsa_float_denorm_mode_32 3
		.amdhsa_float_denorm_mode_16_64 3
		.amdhsa_dx10_clamp 1
		.amdhsa_ieee_mode 1
		.amdhsa_fp16_overflow 0
		.amdhsa_workgroup_processor_mode 1
		.amdhsa_memory_ordered 1
		.amdhsa_forward_progress 1
		.amdhsa_shared_vgpr_count 0
		.amdhsa_exception_fp_ieee_invalid_op 0
		.amdhsa_exception_fp_denorm_src 0
		.amdhsa_exception_fp_ieee_div_zero 0
		.amdhsa_exception_fp_ieee_overflow 0
		.amdhsa_exception_fp_ieee_underflow 0
		.amdhsa_exception_fp_ieee_inexact 0
		.amdhsa_exception_int_div_zero 0
	.end_amdhsa_kernel
	.section	.text._Z27flag_heads_and_tails_kernelIibN6hipcub10InequalityELj128ELj1EEvPT_PxS4_,"axG",@progbits,_Z27flag_heads_and_tails_kernelIibN6hipcub10InequalityELj128ELj1EEvPT_PxS4_,comdat
.Lfunc_end70:
	.size	_Z27flag_heads_and_tails_kernelIibN6hipcub10InequalityELj128ELj1EEvPT_PxS4_, .Lfunc_end70-_Z27flag_heads_and_tails_kernelIibN6hipcub10InequalityELj128ELj1EEvPT_PxS4_
                                        ; -- End function
	.set _Z27flag_heads_and_tails_kernelIibN6hipcub10InequalityELj128ELj1EEvPT_PxS4_.num_vgpr, 5
	.set _Z27flag_heads_and_tails_kernelIibN6hipcub10InequalityELj128ELj1EEvPT_PxS4_.num_agpr, 0
	.set _Z27flag_heads_and_tails_kernelIibN6hipcub10InequalityELj128ELj1EEvPT_PxS4_.numbered_sgpr, 14
	.set _Z27flag_heads_and_tails_kernelIibN6hipcub10InequalityELj128ELj1EEvPT_PxS4_.num_named_barrier, 0
	.set _Z27flag_heads_and_tails_kernelIibN6hipcub10InequalityELj128ELj1EEvPT_PxS4_.private_seg_size, 0
	.set _Z27flag_heads_and_tails_kernelIibN6hipcub10InequalityELj128ELj1EEvPT_PxS4_.uses_vcc, 1
	.set _Z27flag_heads_and_tails_kernelIibN6hipcub10InequalityELj128ELj1EEvPT_PxS4_.uses_flat_scratch, 0
	.set _Z27flag_heads_and_tails_kernelIibN6hipcub10InequalityELj128ELj1EEvPT_PxS4_.has_dyn_sized_stack, 0
	.set _Z27flag_heads_and_tails_kernelIibN6hipcub10InequalityELj128ELj1EEvPT_PxS4_.has_recursion, 0
	.set _Z27flag_heads_and_tails_kernelIibN6hipcub10InequalityELj128ELj1EEvPT_PxS4_.has_indirect_call, 0
	.section	.AMDGPU.csdata,"",@progbits
; Kernel info:
; codeLenInByte = 864
; TotalNumSgprs: 16
; NumVgprs: 5
; ScratchSize: 0
; MemoryBound: 0
; FloatMode: 240
; IeeeMode: 1
; LDSByteSize: 1024 bytes/workgroup (compile time only)
; SGPRBlocks: 0
; VGPRBlocks: 0
; NumSGPRsForWavesPerEU: 16
; NumVGPRsForWavesPerEU: 5
; Occupancy: 16
; WaveLimiterHint : 0
; COMPUTE_PGM_RSRC2:SCRATCH_EN: 0
; COMPUTE_PGM_RSRC2:USER_SGPR: 6
; COMPUTE_PGM_RSRC2:TRAP_HANDLER: 0
; COMPUTE_PGM_RSRC2:TGID_X_EN: 1
; COMPUTE_PGM_RSRC2:TGID_Y_EN: 0
; COMPUTE_PGM_RSRC2:TGID_Z_EN: 0
; COMPUTE_PGM_RSRC2:TIDIG_COMP_CNT: 0
	.section	.text._Z27flag_heads_and_tails_kernelIjiN6hipcub8EqualityELj64ELj1EEvPT_PxS4_,"axG",@progbits,_Z27flag_heads_and_tails_kernelIjiN6hipcub8EqualityELj64ELj1EEvPT_PxS4_,comdat
	.protected	_Z27flag_heads_and_tails_kernelIjiN6hipcub8EqualityELj64ELj1EEvPT_PxS4_ ; -- Begin function _Z27flag_heads_and_tails_kernelIjiN6hipcub8EqualityELj64ELj1EEvPT_PxS4_
	.globl	_Z27flag_heads_and_tails_kernelIjiN6hipcub8EqualityELj64ELj1EEvPT_PxS4_
	.p2align	8
	.type	_Z27flag_heads_and_tails_kernelIjiN6hipcub8EqualityELj64ELj1EEvPT_PxS4_,@function
_Z27flag_heads_and_tails_kernelIjiN6hipcub8EqualityELj64ELj1EEvPT_PxS4_: ; @_Z27flag_heads_and_tails_kernelIjiN6hipcub8EqualityELj64ELj1EEvPT_PxS4_
; %bb.0:
	s_clause 0x1
	s_load_dwordx4 s[8:11], s[4:5], 0x0
	s_load_dwordx2 s[2:3], s[4:5], 0x10
	s_lshl_b32 s12, s6, 6
	s_mov_b32 s13, 0
	v_lshlrev_b32_e32 v3, 2, v0
	s_lshl_b64 s[0:1], s[12:13], 2
	s_waitcnt lgkmcnt(0)
	s_add_u32 s0, s8, s0
	s_addc_u32 s1, s9, s1
	global_load_dword v2, v3, s[0:1]
	s_and_b32 s1, s6, 3
	s_cmp_lt_i32 s1, 2
	s_cbranch_scc1 .LBB71_8
; %bb.1:
	s_cmp_gt_i32 s1, 2
	s_cbranch_scc0 .LBB71_9
; %bb.2:
	v_mov_b32_e32 v1, 1
	s_mov_b32 s0, exec_lo
	s_waitcnt vmcnt(0)
	ds_write_b32 v3, v2
	s_waitcnt lgkmcnt(0)
	s_barrier
	buffer_gl0_inv
	v_cmpx_ne_u32_e32 0, v0
	s_cbranch_execz .LBB71_4
; %bb.3:
	v_add_nc_u32_e32 v1, -4, v3
	ds_read_b32 v1, v1
	s_waitcnt lgkmcnt(0)
	v_cmp_eq_u32_e32 vcc_lo, v1, v2
	v_cndmask_b32_e64 v1, 0, 1, vcc_lo
.LBB71_4:
	s_or_b32 exec_lo, exec_lo, s0
	s_mov_b32 s4, -1
	s_mov_b32 s0, exec_lo
	ds_write_b32 v3, v2 offset:256
	s_waitcnt lgkmcnt(0)
	s_barrier
	buffer_gl0_inv
	v_cmpx_ne_u32_e32 63, v0
	s_cbranch_execz .LBB71_6
; %bb.5:
	ds_read_b32 v4, v3 offset:260
	s_waitcnt lgkmcnt(0)
	v_cmp_eq_u32_e32 vcc_lo, v2, v4
	s_orn2_b32 s4, vcc_lo, exec_lo
.LBB71_6:
	s_or_b32 exec_lo, exec_lo, s0
.LBB71_7:
	s_cbranch_execz .LBB71_15
	s_branch .LBB71_27
.LBB71_8:
                                        ; implicit-def: $sgpr4
                                        ; implicit-def: $vgpr1
	s_branch .LBB71_15
.LBB71_9:
                                        ; implicit-def: $sgpr4
                                        ; implicit-def: $vgpr1
	s_cbranch_execz .LBB71_7
; %bb.10:
	s_add_i32 s4, s12, -1
	s_mov_b32 s5, 0
	s_waitcnt vmcnt(0)
	ds_write_b32 v3, v2
	s_lshl_b64 s[4:5], s[4:5], 2
	s_add_u32 s4, s8, s4
	s_addc_u32 s5, s9, s5
	s_load_dword s0, s[4:5], 0x0
	s_mov_b32 s4, -1
	s_waitcnt lgkmcnt(0)
	s_barrier
	buffer_gl0_inv
	v_mov_b32_e32 v1, s0
	s_mov_b32 s0, exec_lo
	v_cmpx_ne_u32_e32 0, v0
; %bb.11:
	v_add_nc_u32_e32 v1, -4, v3
	ds_read_b32 v1, v1
; %bb.12:
	s_or_b32 exec_lo, exec_lo, s0
	s_mov_b32 s5, exec_lo
	s_waitcnt lgkmcnt(0)
	v_cmp_eq_u32_e32 vcc_lo, v1, v2
	ds_write_b32 v3, v2 offset:256
	s_waitcnt lgkmcnt(0)
	s_barrier
	buffer_gl0_inv
	v_cmpx_ne_u32_e32 63, v0
	s_cbranch_execz .LBB71_14
; %bb.13:
	ds_read_b32 v1, v3 offset:260
	s_waitcnt lgkmcnt(0)
	v_cmp_eq_u32_e64 s0, v2, v1
	s_orn2_b32 s4, s0, exec_lo
.LBB71_14:
	s_or_b32 exec_lo, exec_lo, s5
	v_cndmask_b32_e64 v1, 0, 1, vcc_lo
	s_cbranch_execnz .LBB71_27
.LBB71_15:
	s_cmp_eq_u32 s1, 1
	v_cmp_ne_u32_e32 vcc_lo, 0, v0
	s_cbranch_scc1 .LBB71_21
; %bb.16:
	s_add_i32 s0, s12, 64
	s_mov_b32 s1, 0
	v_mov_b32_e32 v1, 1
	s_lshl_b64 s[0:1], s[0:1], 2
	s_waitcnt vmcnt(0)
	ds_write_b32 v3, v2
	s_add_u32 s0, s8, s0
	s_addc_u32 s1, s9, s1
	s_load_dword s0, s[0:1], 0x0
	s_waitcnt lgkmcnt(0)
	s_barrier
	buffer_gl0_inv
	s_and_saveexec_b32 s1, vcc_lo
	s_cbranch_execz .LBB71_18
; %bb.17:
	v_add_nc_u32_e32 v1, -4, v3
	ds_read_b32 v1, v1
	s_waitcnt lgkmcnt(0)
	v_cmp_eq_u32_e32 vcc_lo, v1, v2
	v_cndmask_b32_e64 v1, 0, 1, vcc_lo
.LBB71_18:
	s_or_b32 exec_lo, exec_lo, s1
	v_mov_b32_e32 v4, s0
	s_mov_b32 s0, exec_lo
	ds_write_b32 v3, v2 offset:256
	s_waitcnt lgkmcnt(0)
	s_barrier
	buffer_gl0_inv
	v_cmpx_ne_u32_e32 63, v0
; %bb.19:
	ds_read_b32 v4, v3 offset:260
; %bb.20:
	s_or_b32 exec_lo, exec_lo, s0
	s_waitcnt lgkmcnt(0)
	v_cmp_eq_u32_e64 s4, v2, v4
	s_branch .LBB71_27
.LBB71_21:
                                        ; implicit-def: $sgpr4
                                        ; implicit-def: $vgpr1
	s_cbranch_execz .LBB71_27
; %bb.22:
	s_add_i32 s0, s12, -1
	s_mov_b32 s1, 0
	s_waitcnt vmcnt(0)
	ds_write_b32 v3, v2
	s_lshl_b64 s[4:5], s[0:1], 2
	s_add_u32 s4, s8, s4
	s_addc_u32 s5, s9, s5
	s_add_i32 s0, s12, 64
	s_load_dword s4, s[4:5], 0x0
	s_lshl_b64 s[0:1], s[0:1], 2
	s_add_u32 s0, s8, s0
	s_addc_u32 s1, s9, s1
	s_load_dword s0, s[0:1], 0x0
	s_mov_b32 s1, exec_lo
	s_waitcnt lgkmcnt(0)
	s_barrier
	buffer_gl0_inv
	v_mov_b32_e32 v1, s4
	v_cmpx_ne_u32_e32 0, v0
; %bb.23:
	v_add_nc_u32_e32 v1, -4, v3
	ds_read_b32 v1, v1
; %bb.24:
	s_or_b32 exec_lo, exec_lo, s1
	v_mov_b32_e32 v4, s0
	s_mov_b32 s0, exec_lo
	ds_write_b32 v3, v2 offset:256
	s_waitcnt lgkmcnt(0)
	s_barrier
	buffer_gl0_inv
	v_cmpx_ne_u32_e32 63, v0
; %bb.25:
	ds_read_b32 v4, v3 offset:260
; %bb.26:
	s_or_b32 exec_lo, exec_lo, s0
	v_cmp_eq_u32_e32 vcc_lo, v1, v2
	s_waitcnt lgkmcnt(0)
	v_cmp_eq_u32_e64 s4, v2, v4
	v_cndmask_b32_e64 v1, 0, 1, vcc_lo
.LBB71_27:
	s_lshl_b64 s[0:1], s[12:13], 3
	s_mov_b32 s5, 0
	v_lshlrev_b32_e32 v0, 3, v0
	s_waitcnt vmcnt(0)
	v_mov_b32_e32 v2, 0
	s_add_u32 s6, s10, s0
	v_cndmask_b32_e64 v3, 0, 1, s4
	v_mov_b32_e32 v4, s5
	s_addc_u32 s7, s11, s1
	s_add_u32 s0, s2, s0
	s_addc_u32 s1, s3, s1
	global_store_dwordx2 v0, v[1:2], s[6:7]
	global_store_dwordx2 v0, v[3:4], s[0:1]
	s_endpgm
	.section	.rodata,"a",@progbits
	.p2align	6, 0x0
	.amdhsa_kernel _Z27flag_heads_and_tails_kernelIjiN6hipcub8EqualityELj64ELj1EEvPT_PxS4_
		.amdhsa_group_segment_fixed_size 512
		.amdhsa_private_segment_fixed_size 0
		.amdhsa_kernarg_size 24
		.amdhsa_user_sgpr_count 6
		.amdhsa_user_sgpr_private_segment_buffer 1
		.amdhsa_user_sgpr_dispatch_ptr 0
		.amdhsa_user_sgpr_queue_ptr 0
		.amdhsa_user_sgpr_kernarg_segment_ptr 1
		.amdhsa_user_sgpr_dispatch_id 0
		.amdhsa_user_sgpr_flat_scratch_init 0
		.amdhsa_user_sgpr_private_segment_size 0
		.amdhsa_wavefront_size32 1
		.amdhsa_uses_dynamic_stack 0
		.amdhsa_system_sgpr_private_segment_wavefront_offset 0
		.amdhsa_system_sgpr_workgroup_id_x 1
		.amdhsa_system_sgpr_workgroup_id_y 0
		.amdhsa_system_sgpr_workgroup_id_z 0
		.amdhsa_system_sgpr_workgroup_info 0
		.amdhsa_system_vgpr_workitem_id 0
		.amdhsa_next_free_vgpr 5
		.amdhsa_next_free_sgpr 14
		.amdhsa_reserve_vcc 1
		.amdhsa_reserve_flat_scratch 0
		.amdhsa_float_round_mode_32 0
		.amdhsa_float_round_mode_16_64 0
		.amdhsa_float_denorm_mode_32 3
		.amdhsa_float_denorm_mode_16_64 3
		.amdhsa_dx10_clamp 1
		.amdhsa_ieee_mode 1
		.amdhsa_fp16_overflow 0
		.amdhsa_workgroup_processor_mode 1
		.amdhsa_memory_ordered 1
		.amdhsa_forward_progress 1
		.amdhsa_shared_vgpr_count 0
		.amdhsa_exception_fp_ieee_invalid_op 0
		.amdhsa_exception_fp_denorm_src 0
		.amdhsa_exception_fp_ieee_div_zero 0
		.amdhsa_exception_fp_ieee_overflow 0
		.amdhsa_exception_fp_ieee_underflow 0
		.amdhsa_exception_fp_ieee_inexact 0
		.amdhsa_exception_int_div_zero 0
	.end_amdhsa_kernel
	.section	.text._Z27flag_heads_and_tails_kernelIjiN6hipcub8EqualityELj64ELj1EEvPT_PxS4_,"axG",@progbits,_Z27flag_heads_and_tails_kernelIjiN6hipcub8EqualityELj64ELj1EEvPT_PxS4_,comdat
.Lfunc_end71:
	.size	_Z27flag_heads_and_tails_kernelIjiN6hipcub8EqualityELj64ELj1EEvPT_PxS4_, .Lfunc_end71-_Z27flag_heads_and_tails_kernelIjiN6hipcub8EqualityELj64ELj1EEvPT_PxS4_
                                        ; -- End function
	.set _Z27flag_heads_and_tails_kernelIjiN6hipcub8EqualityELj64ELj1EEvPT_PxS4_.num_vgpr, 5
	.set _Z27flag_heads_and_tails_kernelIjiN6hipcub8EqualityELj64ELj1EEvPT_PxS4_.num_agpr, 0
	.set _Z27flag_heads_and_tails_kernelIjiN6hipcub8EqualityELj64ELj1EEvPT_PxS4_.numbered_sgpr, 14
	.set _Z27flag_heads_and_tails_kernelIjiN6hipcub8EqualityELj64ELj1EEvPT_PxS4_.num_named_barrier, 0
	.set _Z27flag_heads_and_tails_kernelIjiN6hipcub8EqualityELj64ELj1EEvPT_PxS4_.private_seg_size, 0
	.set _Z27flag_heads_and_tails_kernelIjiN6hipcub8EqualityELj64ELj1EEvPT_PxS4_.uses_vcc, 1
	.set _Z27flag_heads_and_tails_kernelIjiN6hipcub8EqualityELj64ELj1EEvPT_PxS4_.uses_flat_scratch, 0
	.set _Z27flag_heads_and_tails_kernelIjiN6hipcub8EqualityELj64ELj1EEvPT_PxS4_.has_dyn_sized_stack, 0
	.set _Z27flag_heads_and_tails_kernelIjiN6hipcub8EqualityELj64ELj1EEvPT_PxS4_.has_recursion, 0
	.set _Z27flag_heads_and_tails_kernelIjiN6hipcub8EqualityELj64ELj1EEvPT_PxS4_.has_indirect_call, 0
	.section	.AMDGPU.csdata,"",@progbits
; Kernel info:
; codeLenInByte = 832
; TotalNumSgprs: 16
; NumVgprs: 5
; ScratchSize: 0
; MemoryBound: 0
; FloatMode: 240
; IeeeMode: 1
; LDSByteSize: 512 bytes/workgroup (compile time only)
; SGPRBlocks: 0
; VGPRBlocks: 0
; NumSGPRsForWavesPerEU: 16
; NumVGPRsForWavesPerEU: 5
; Occupancy: 16
; WaveLimiterHint : 0
; COMPUTE_PGM_RSRC2:SCRATCH_EN: 0
; COMPUTE_PGM_RSRC2:USER_SGPR: 6
; COMPUTE_PGM_RSRC2:TRAP_HANDLER: 0
; COMPUTE_PGM_RSRC2:TGID_X_EN: 1
; COMPUTE_PGM_RSRC2:TGID_Y_EN: 0
; COMPUTE_PGM_RSRC2:TGID_Z_EN: 0
; COMPUTE_PGM_RSRC2:TIDIG_COMP_CNT: 0
	.section	.AMDGPU.gpr_maximums,"",@progbits
	.set amdgpu.max_num_vgpr, 0
	.set amdgpu.max_num_agpr, 0
	.set amdgpu.max_num_sgpr, 0
	.section	.AMDGPU.csdata,"",@progbits
	.type	__hip_cuid_6f155e051a45e589,@object ; @__hip_cuid_6f155e051a45e589
	.section	.bss,"aw",@nobits
	.globl	__hip_cuid_6f155e051a45e589
__hip_cuid_6f155e051a45e589:
	.byte	0                               ; 0x0
	.size	__hip_cuid_6f155e051a45e589, 1

	.ident	"AMD clang version 22.0.0git (https://github.com/RadeonOpenCompute/llvm-project roc-7.2.4 26084 f58b06dce1f9c15707c5f808fd002e18c2accf7e)"
	.section	".note.GNU-stack","",@progbits
	.addrsig
	.addrsig_sym __hip_cuid_6f155e051a45e589
	.amdgpu_metadata
---
amdhsa.kernels:
  - .args:
      - .address_space:  global
        .offset:         0
        .size:           8
        .value_kind:     global_buffer
      - .address_space:  global
        .offset:         8
        .size:           8
        .value_kind:     global_buffer
    .group_segment_fixed_size: 936
    .kernarg_segment_align: 8
    .kernarg_segment_size: 16
    .language:       OpenCL C
    .language_version:
      - 2
      - 0
    .max_flat_workgroup_size: 234
    .name:           _Z17flag_heads_kernelIsb15custom_flag_op1IsELj234ELj9EEvPT_Px
    .private_segment_fixed_size: 0
    .sgpr_count:     12
    .sgpr_spill_count: 0
    .symbol:         _Z17flag_heads_kernelIsb15custom_flag_op1IsELj234ELj9EEvPT_Px.kd
    .uniform_work_group_size: 1
    .uses_dynamic_stack: false
    .vgpr_count:     17
    .vgpr_spill_count: 0
    .wavefront_size: 32
    .workgroup_processor_mode: 1
  - .args:
      - .address_space:  global
        .offset:         0
        .size:           8
        .value_kind:     global_buffer
      - .address_space:  global
        .offset:         8
        .size:           8
        .value_kind:     global_buffer
    .group_segment_fixed_size: 400
    .kernarg_segment_align: 8
    .kernarg_segment_size: 16
    .language:       OpenCL C
    .language_version:
      - 2
      - 0
    .max_flat_workgroup_size: 100
    .name:           _Z17flag_heads_kernelItiN10test_utils7greaterELj100ELj3EEvPT_Px
    .private_segment_fixed_size: 0
    .sgpr_count:     12
    .sgpr_spill_count: 0
    .symbol:         _Z17flag_heads_kernelItiN10test_utils7greaterELj100ELj3EEvPT_Px.kd
    .uniform_work_group_size: 1
    .uses_dynamic_stack: false
    .vgpr_count:     8
    .vgpr_spill_count: 0
    .wavefront_size: 32
    .workgroup_processor_mode: 1
  - .args:
      - .address_space:  global
        .offset:         0
        .size:           8
        .value_kind:     global_buffer
      - .address_space:  global
        .offset:         8
        .size:           8
        .value_kind:     global_buffer
    .group_segment_fixed_size: 1856
    .kernarg_segment_align: 8
    .kernarg_segment_size: 16
    .language:       OpenCL C
    .language_version:
      - 2
      - 0
    .max_flat_workgroup_size: 464
    .name:           _Z17flag_heads_kernelI12hip_bfloat16jN10test_utils7greaterELj464ELj2EEvPT_Px
    .private_segment_fixed_size: 0
    .sgpr_count:     12
    .sgpr_spill_count: 0
    .symbol:         _Z17flag_heads_kernelI12hip_bfloat16jN10test_utils7greaterELj464ELj2EEvPT_Px.kd
    .uniform_work_group_size: 1
    .uses_dynamic_stack: false
    .vgpr_count:     8
    .vgpr_spill_count: 0
    .wavefront_size: 32
    .workgroup_processor_mode: 1
  - .args:
      - .address_space:  global
        .offset:         0
        .size:           8
        .value_kind:     global_buffer
      - .address_space:  global
        .offset:         8
        .size:           8
        .value_kind:     global_buffer
    .group_segment_fixed_size: 1856
    .kernarg_segment_align: 8
    .kernarg_segment_size: 16
    .language:       OpenCL C
    .language_version:
      - 2
      - 0
    .max_flat_workgroup_size: 464
    .name:           _Z17flag_heads_kernelI6__halfjN10test_utils7greaterELj464ELj2EEvPT_Px
    .private_segment_fixed_size: 0
    .sgpr_count:     12
    .sgpr_spill_count: 0
    .symbol:         _Z17flag_heads_kernelI6__halfjN10test_utils7greaterELj464ELj2EEvPT_Px.kd
    .uniform_work_group_size: 1
    .uses_dynamic_stack: false
    .vgpr_count:     6
    .vgpr_spill_count: 0
    .wavefront_size: 32
    .workgroup_processor_mode: 1
  - .args:
      - .address_space:  global
        .offset:         0
        .size:           8
        .value_kind:     global_buffer
      - .address_space:  global
        .offset:         8
        .size:           8
        .value_kind:     global_buffer
    .group_segment_fixed_size: 7424
    .kernarg_segment_align: 8
    .kernarg_segment_size: 16
    .language:       OpenCL C
    .language_version:
      - 2
      - 0
    .max_flat_workgroup_size: 464
    .name:           _Z17flag_heads_kernelIdjN6hipcub8EqualityELj464ELj2EEvPT_Px
    .private_segment_fixed_size: 0
    .sgpr_count:     14
    .sgpr_spill_count: 0
    .symbol:         _Z17flag_heads_kernelIdjN6hipcub8EqualityELj464ELj2EEvPT_Px.kd
    .uniform_work_group_size: 1
    .uses_dynamic_stack: false
    .vgpr_count:     10
    .vgpr_spill_count: 0
    .wavefront_size: 32
    .workgroup_processor_mode: 1
  - .args:
      - .address_space:  global
        .offset:         0
        .size:           8
        .value_kind:     global_buffer
      - .address_space:  global
        .offset:         8
        .size:           8
        .value_kind:     global_buffer
    .group_segment_fixed_size: 528
    .kernarg_segment_align: 8
    .kernarg_segment_size: 16
    .language:       OpenCL C
    .language_version:
      - 2
      - 0
    .max_flat_workgroup_size: 33
    .name:           _Z17flag_heads_kernelIdi15custom_flag_op2IdELj33ELj5EEvPT_Px
    .private_segment_fixed_size: 0
    .sgpr_count:     14
    .sgpr_spill_count: 0
    .symbol:         _Z17flag_heads_kernelIdi15custom_flag_op2IdELj33ELj5EEvPT_Px.kd
    .uniform_work_group_size: 1
    .uses_dynamic_stack: false
    .vgpr_count:     27
    .vgpr_spill_count: 0
    .wavefront_size: 32
    .workgroup_processor_mode: 1
  - .args:
      - .address_space:  global
        .offset:         0
        .size:           8
        .value_kind:     global_buffer
      - .address_space:  global
        .offset:         8
        .size:           8
        .value_kind:     global_buffer
    .group_segment_fixed_size: 2048
    .kernarg_segment_align: 8
    .kernarg_segment_size: 16
    .language:       OpenCL C
    .language_version:
      - 2
      - 0
    .max_flat_workgroup_size: 512
    .name:           _Z17flag_heads_kernelIssN6hipcub8EqualityELj512ELj8EEvPT_Px
    .private_segment_fixed_size: 0
    .sgpr_count:     12
    .sgpr_spill_count: 0
    .symbol:         _Z17flag_heads_kernelIssN6hipcub8EqualityELj512ELj8EEvPT_Px.kd
    .uniform_work_group_size: 1
    .uses_dynamic_stack: false
    .vgpr_count:     17
    .vgpr_spill_count: 0
    .wavefront_size: 32
    .workgroup_processor_mode: 1
  - .args:
      - .address_space:  global
        .offset:         0
        .size:           8
        .value_kind:     global_buffer
      - .address_space:  global
        .offset:         8
        .size:           8
        .value_kind:     global_buffer
    .group_segment_fixed_size: 1024
    .kernarg_segment_align: 8
    .kernarg_segment_size: 16
    .language:       OpenCL C
    .language_version:
      - 2
      - 0
    .max_flat_workgroup_size: 256
    .name:           _Z17flag_heads_kernelIth15custom_flag_op2ItELj256ELj7EEvPT_Px
    .private_segment_fixed_size: 0
    .sgpr_count:     12
    .sgpr_spill_count: 0
    .symbol:         _Z17flag_heads_kernelIth15custom_flag_op2ItELj256ELj7EEvPT_Px.kd
    .uniform_work_group_size: 1
    .uses_dynamic_stack: false
    .vgpr_count:     17
    .vgpr_spill_count: 0
    .wavefront_size: 32
    .workgroup_processor_mode: 1
  - .args:
      - .address_space:  global
        .offset:         0
        .size:           8
        .value_kind:     global_buffer
      - .address_space:  global
        .offset:         8
        .size:           8
        .value_kind:     global_buffer
    .group_segment_fixed_size: 1024
    .kernarg_segment_align: 8
    .kernarg_segment_size: 16
    .language:       OpenCL C
    .language_version:
      - 2
      - 0
    .max_flat_workgroup_size: 128
    .name:           _Z17flag_heads_kernelIisN10test_utils4lessELj128ELj4EEvPT_Px
    .private_segment_fixed_size: 0
    .sgpr_count:     12
    .sgpr_spill_count: 0
    .symbol:         _Z17flag_heads_kernelIisN10test_utils4lessELj128ELj4EEvPT_Px.kd
    .uniform_work_group_size: 1
    .uses_dynamic_stack: false
    .vgpr_count:     11
    .vgpr_spill_count: 0
    .wavefront_size: 32
    .workgroup_processor_mode: 1
  - .args:
      - .address_space:  global
        .offset:         0
        .size:           8
        .value_kind:     global_buffer
      - .address_space:  global
        .offset:         8
        .size:           8
        .value_kind:     global_buffer
    .group_segment_fixed_size: 512
    .kernarg_segment_align: 8
    .kernarg_segment_size: 16
    .language:       OpenCL C
    .language_version:
      - 2
      - 0
    .max_flat_workgroup_size: 64
    .name:           _Z17flag_heads_kernelIic15custom_flag_op2IiELj64ELj2EEvPT_Px
    .private_segment_fixed_size: 0
    .sgpr_count:     12
    .sgpr_spill_count: 0
    .symbol:         _Z17flag_heads_kernelIic15custom_flag_op2IiELj64ELj2EEvPT_Px.kd
    .uniform_work_group_size: 1
    .uses_dynamic_stack: false
    .vgpr_count:     7
    .vgpr_spill_count: 0
    .wavefront_size: 32
    .workgroup_processor_mode: 1
  - .args:
      - .address_space:  global
        .offset:         0
        .size:           8
        .value_kind:     global_buffer
      - .address_space:  global
        .offset:         8
        .size:           8
        .value_kind:     global_buffer
    .group_segment_fixed_size: 510
    .kernarg_segment_align: 8
    .kernarg_segment_size: 16
    .language:       OpenCL C
    .language_version:
      - 2
      - 0
    .max_flat_workgroup_size: 255
    .name:           _Z17flag_heads_kernelIhbN6hipcub8EqualityELj255ELj1EEvPT_Px
    .private_segment_fixed_size: 0
    .sgpr_count:     12
    .sgpr_spill_count: 0
    .symbol:         _Z17flag_heads_kernelIhbN6hipcub8EqualityELj255ELj1EEvPT_Px.kd
    .uniform_work_group_size: 1
    .uses_dynamic_stack: false
    .vgpr_count:     3
    .vgpr_spill_count: 0
    .wavefront_size: 32
    .workgroup_processor_mode: 1
  - .args:
      - .address_space:  global
        .offset:         0
        .size:           8
        .value_kind:     global_buffer
      - .address_space:  global
        .offset:         8
        .size:           8
        .value_kind:     global_buffer
    .group_segment_fixed_size: 1296
    .kernarg_segment_align: 8
    .kernarg_segment_size: 16
    .language:       OpenCL C
    .language_version:
      - 2
      - 0
    .max_flat_workgroup_size: 162
    .name:           _Z17flag_heads_kernelIjxN6hipcub10InequalityELj162ELj1EEvPT_Px
    .private_segment_fixed_size: 0
    .sgpr_count:     12
    .sgpr_spill_count: 0
    .symbol:         _Z17flag_heads_kernelIjxN6hipcub10InequalityELj162ELj1EEvPT_Px.kd
    .uniform_work_group_size: 1
    .uses_dynamic_stack: false
    .vgpr_count:     4
    .vgpr_spill_count: 0
    .wavefront_size: 32
    .workgroup_processor_mode: 1
  - .args:
      - .address_space:  global
        .offset:         0
        .size:           8
        .value_kind:     global_buffer
      - .address_space:  global
        .offset:         8
        .size:           8
        .value_kind:     global_buffer
    .group_segment_fixed_size: 8160
    .kernarg_segment_align: 8
    .kernarg_segment_size: 16
    .language:       OpenCL C
    .language_version:
      - 2
      - 0
    .max_flat_workgroup_size: 510
    .name:           _Z17flag_heads_kernelIxcN10test_utils13greater_equalELj510ELj1EEvPT_Px
    .private_segment_fixed_size: 0
    .sgpr_count:     14
    .sgpr_spill_count: 0
    .symbol:         _Z17flag_heads_kernelIxcN10test_utils13greater_equalELj510ELj1EEvPT_Px.kd
    .uniform_work_group_size: 1
    .uses_dynamic_stack: false
    .vgpr_count:     6
    .vgpr_spill_count: 0
    .wavefront_size: 32
    .workgroup_processor_mode: 1
  - .args:
      - .address_space:  global
        .offset:         0
        .size:           8
        .value_kind:     global_buffer
      - .address_space:  global
        .offset:         8
        .size:           8
        .value_kind:     global_buffer
    .group_segment_fixed_size: 148
    .kernarg_segment_align: 8
    .kernarg_segment_size: 16
    .language:       OpenCL C
    .language_version:
      - 2
      - 0
    .max_flat_workgroup_size: 37
    .name:           _Z17flag_heads_kernelI12hip_bfloat16iN10test_utils7greaterELj37ELj1EEvPT_Px
    .private_segment_fixed_size: 0
    .sgpr_count:     12
    .sgpr_spill_count: 0
    .symbol:         _Z17flag_heads_kernelI12hip_bfloat16iN10test_utils7greaterELj37ELj1EEvPT_Px.kd
    .uniform_work_group_size: 1
    .uses_dynamic_stack: false
    .vgpr_count:     5
    .vgpr_spill_count: 0
    .wavefront_size: 32
    .workgroup_processor_mode: 1
  - .args:
      - .address_space:  global
        .offset:         0
        .size:           8
        .value_kind:     global_buffer
      - .address_space:  global
        .offset:         8
        .size:           8
        .value_kind:     global_buffer
    .group_segment_fixed_size: 148
    .kernarg_segment_align: 8
    .kernarg_segment_size: 16
    .language:       OpenCL C
    .language_version:
      - 2
      - 0
    .max_flat_workgroup_size: 37
    .name:           _Z17flag_heads_kernelI6__halfiN10test_utils7greaterELj37ELj1EEvPT_Px
    .private_segment_fixed_size: 0
    .sgpr_count:     12
    .sgpr_spill_count: 0
    .symbol:         _Z17flag_heads_kernelI6__halfiN10test_utils7greaterELj37ELj1EEvPT_Px.kd
    .uniform_work_group_size: 1
    .uses_dynamic_stack: false
    .vgpr_count:     4
    .vgpr_spill_count: 0
    .wavefront_size: 32
    .workgroup_processor_mode: 1
  - .args:
      - .address_space:  global
        .offset:         0
        .size:           8
        .value_kind:     global_buffer
      - .address_space:  global
        .offset:         8
        .size:           8
        .value_kind:     global_buffer
    .group_segment_fixed_size: 296
    .kernarg_segment_align: 8
    .kernarg_segment_size: 16
    .language:       OpenCL C
    .language_version:
      - 2
      - 0
    .max_flat_workgroup_size: 37
    .name:           _Z17flag_heads_kernelIfi15custom_flag_op1IfELj37ELj1EEvPT_Px
    .private_segment_fixed_size: 0
    .sgpr_count:     12
    .sgpr_spill_count: 0
    .symbol:         _Z17flag_heads_kernelIfi15custom_flag_op1IfELj37ELj1EEvPT_Px.kd
    .uniform_work_group_size: 1
    .uses_dynamic_stack: false
    .vgpr_count:     4
    .vgpr_spill_count: 0
    .wavefront_size: 32
    .workgroup_processor_mode: 1
  - .args:
      - .address_space:  global
        .offset:         0
        .size:           8
        .value_kind:     global_buffer
      - .address_space:  global
        .offset:         8
        .size:           8
        .value_kind:     global_buffer
    .group_segment_fixed_size: 1040
    .kernarg_segment_align: 8
    .kernarg_segment_size: 16
    .language:       OpenCL C
    .language_version:
      - 2
      - 0
    .max_flat_workgroup_size: 65
    .name:           _Z17flag_heads_kernelIdjN10test_utils7greaterELj65ELj1EEvPT_Px
    .private_segment_fixed_size: 0
    .sgpr_count:     14
    .sgpr_spill_count: 0
    .symbol:         _Z17flag_heads_kernelIdjN10test_utils7greaterELj65ELj1EEvPT_Px.kd
    .uniform_work_group_size: 1
    .uses_dynamic_stack: false
    .vgpr_count:     6
    .vgpr_spill_count: 0
    .wavefront_size: 32
    .workgroup_processor_mode: 1
  - .args:
      - .address_space:  global
        .offset:         0
        .size:           8
        .value_kind:     global_buffer
      - .address_space:  global
        .offset:         8
        .size:           8
        .value_kind:     global_buffer
    .group_segment_fixed_size: 2048
    .kernarg_segment_align: 8
    .kernarg_segment_size: 16
    .language:       OpenCL C
    .language_version:
      - 2
      - 0
    .max_flat_workgroup_size: 256
    .name:           _Z17flag_heads_kernelIib15custom_flag_op1IiELj256ELj1EEvPT_Px
    .private_segment_fixed_size: 0
    .sgpr_count:     12
    .sgpr_spill_count: 0
    .symbol:         _Z17flag_heads_kernelIib15custom_flag_op1IiELj256ELj1EEvPT_Px.kd
    .uniform_work_group_size: 1
    .uses_dynamic_stack: false
    .vgpr_count:     4
    .vgpr_spill_count: 0
    .wavefront_size: 32
    .workgroup_processor_mode: 1
  - .args:
      - .address_space:  global
        .offset:         0
        .size:           8
        .value_kind:     global_buffer
      - .address_space:  global
        .offset:         8
        .size:           8
        .value_kind:     global_buffer
    .group_segment_fixed_size: 2048
    .kernarg_segment_align: 8
    .kernarg_segment_size: 16
    .language:       OpenCL C
    .language_version:
      - 2
      - 0
    .max_flat_workgroup_size: 1024
    .name:           _Z17flag_heads_kernelIccN10test_utils10less_equalELj1024ELj1EEvPT_Px
    .private_segment_fixed_size: 0
    .sgpr_count:     12
    .sgpr_spill_count: 0
    .symbol:         _Z17flag_heads_kernelIccN10test_utils10less_equalELj1024ELj1EEvPT_Px.kd
    .uniform_work_group_size: 1
    .uses_dynamic_stack: false
    .vgpr_count:     3
    .vgpr_spill_count: 0
    .wavefront_size: 32
    .workgroup_processor_mode: 1
  - .args:
      - .address_space:  global
        .offset:         0
        .size:           8
        .value_kind:     global_buffer
      - .address_space:  global
        .offset:         8
        .size:           8
        .value_kind:     global_buffer
    .group_segment_fixed_size: 1024
    .kernarg_segment_align: 8
    .kernarg_segment_size: 16
    .language:       OpenCL C
    .language_version:
      - 2
      - 0
    .max_flat_workgroup_size: 256
    .name:           _Z17flag_heads_kernelI12hip_bfloat16iN10test_utils4lessELj256ELj1EEvPT_Px
    .private_segment_fixed_size: 0
    .sgpr_count:     12
    .sgpr_spill_count: 0
    .symbol:         _Z17flag_heads_kernelI12hip_bfloat16iN10test_utils4lessELj256ELj1EEvPT_Px.kd
    .uniform_work_group_size: 1
    .uses_dynamic_stack: false
    .vgpr_count:     5
    .vgpr_spill_count: 0
    .wavefront_size: 32
    .workgroup_processor_mode: 1
  - .args:
      - .address_space:  global
        .offset:         0
        .size:           8
        .value_kind:     global_buffer
      - .address_space:  global
        .offset:         8
        .size:           8
        .value_kind:     global_buffer
    .group_segment_fixed_size: 1024
    .kernarg_segment_align: 8
    .kernarg_segment_size: 16
    .language:       OpenCL C
    .language_version:
      - 2
      - 0
    .max_flat_workgroup_size: 256
    .name:           _Z17flag_heads_kernelI6__halfiN10test_utils4lessELj256ELj1EEvPT_Px
    .private_segment_fixed_size: 0
    .sgpr_count:     12
    .sgpr_spill_count: 0
    .symbol:         _Z17flag_heads_kernelI6__halfiN10test_utils4lessELj256ELj1EEvPT_Px.kd
    .uniform_work_group_size: 1
    .uses_dynamic_stack: false
    .vgpr_count:     4
    .vgpr_spill_count: 0
    .wavefront_size: 32
    .workgroup_processor_mode: 1
  - .args:
      - .address_space:  global
        .offset:         0
        .size:           8
        .value_kind:     global_buffer
      - .address_space:  global
        .offset:         8
        .size:           8
        .value_kind:     global_buffer
    .group_segment_fixed_size: 2048
    .kernarg_segment_align: 8
    .kernarg_segment_size: 16
    .language:       OpenCL C
    .language_version:
      - 2
      - 0
    .max_flat_workgroup_size: 256
    .name:           _Z17flag_heads_kernelIfiN10test_utils4lessELj256ELj1EEvPT_Px
    .private_segment_fixed_size: 0
    .sgpr_count:     12
    .sgpr_spill_count: 0
    .symbol:         _Z17flag_heads_kernelIfiN10test_utils4lessELj256ELj1EEvPT_Px.kd
    .uniform_work_group_size: 1
    .uses_dynamic_stack: false
    .vgpr_count:     4
    .vgpr_spill_count: 0
    .wavefront_size: 32
    .workgroup_processor_mode: 1
  - .args:
      - .address_space:  global
        .offset:         0
        .size:           8
        .value_kind:     global_buffer
      - .address_space:  global
        .offset:         8
        .size:           8
        .value_kind:     global_buffer
    .group_segment_fixed_size: 1024
    .kernarg_segment_align: 8
    .kernarg_segment_size: 16
    .language:       OpenCL C
    .language_version:
      - 2
      - 0
    .max_flat_workgroup_size: 128
    .name:           _Z17flag_heads_kernelIibN6hipcub10InequalityELj128ELj1EEvPT_Px
    .private_segment_fixed_size: 0
    .sgpr_count:     12
    .sgpr_spill_count: 0
    .symbol:         _Z17flag_heads_kernelIibN6hipcub10InequalityELj128ELj1EEvPT_Px.kd
    .uniform_work_group_size: 1
    .uses_dynamic_stack: false
    .vgpr_count:     4
    .vgpr_spill_count: 0
    .wavefront_size: 32
    .workgroup_processor_mode: 1
  - .args:
      - .address_space:  global
        .offset:         0
        .size:           8
        .value_kind:     global_buffer
      - .address_space:  global
        .offset:         8
        .size:           8
        .value_kind:     global_buffer
    .group_segment_fixed_size: 512
    .kernarg_segment_align: 8
    .kernarg_segment_size: 16
    .language:       OpenCL C
    .language_version:
      - 2
      - 0
    .max_flat_workgroup_size: 64
    .name:           _Z17flag_heads_kernelIjiN6hipcub8EqualityELj64ELj1EEvPT_Px
    .private_segment_fixed_size: 0
    .sgpr_count:     12
    .sgpr_spill_count: 0
    .symbol:         _Z17flag_heads_kernelIjiN6hipcub8EqualityELj64ELj1EEvPT_Px.kd
    .uniform_work_group_size: 1
    .uses_dynamic_stack: false
    .vgpr_count:     4
    .vgpr_spill_count: 0
    .wavefront_size: 32
    .workgroup_processor_mode: 1
  - .args:
      - .address_space:  global
        .offset:         0
        .size:           8
        .value_kind:     global_buffer
      - .address_space:  global
        .offset:         8
        .size:           8
        .value_kind:     global_buffer
    .group_segment_fixed_size: 936
    .kernarg_segment_align: 8
    .kernarg_segment_size: 16
    .language:       OpenCL C
    .language_version:
      - 2
      - 0
    .max_flat_workgroup_size: 234
    .name:           _Z17flag_tails_kernelIsb15custom_flag_op1IsELj234ELj9EEvPT_Px
    .private_segment_fixed_size: 0
    .sgpr_count:     14
    .sgpr_spill_count: 0
    .symbol:         _Z17flag_tails_kernelIsb15custom_flag_op1IsELj234ELj9EEvPT_Px.kd
    .uniform_work_group_size: 1
    .uses_dynamic_stack: false
    .vgpr_count:     17
    .vgpr_spill_count: 0
    .wavefront_size: 32
    .workgroup_processor_mode: 1
  - .args:
      - .address_space:  global
        .offset:         0
        .size:           8
        .value_kind:     global_buffer
      - .address_space:  global
        .offset:         8
        .size:           8
        .value_kind:     global_buffer
    .group_segment_fixed_size: 400
    .kernarg_segment_align: 8
    .kernarg_segment_size: 16
    .language:       OpenCL C
    .language_version:
      - 2
      - 0
    .max_flat_workgroup_size: 100
    .name:           _Z17flag_tails_kernelItiN10test_utils7greaterELj100ELj3EEvPT_Px
    .private_segment_fixed_size: 0
    .sgpr_count:     14
    .sgpr_spill_count: 0
    .symbol:         _Z17flag_tails_kernelItiN10test_utils7greaterELj100ELj3EEvPT_Px.kd
    .uniform_work_group_size: 1
    .uses_dynamic_stack: false
    .vgpr_count:     8
    .vgpr_spill_count: 0
    .wavefront_size: 32
    .workgroup_processor_mode: 1
  - .args:
      - .address_space:  global
        .offset:         0
        .size:           8
        .value_kind:     global_buffer
      - .address_space:  global
        .offset:         8
        .size:           8
        .value_kind:     global_buffer
    .group_segment_fixed_size: 1856
    .kernarg_segment_align: 8
    .kernarg_segment_size: 16
    .language:       OpenCL C
    .language_version:
      - 2
      - 0
    .max_flat_workgroup_size: 464
    .name:           _Z17flag_tails_kernelI12hip_bfloat16jN10test_utils7greaterELj464ELj2EEvPT_Px
    .private_segment_fixed_size: 0
    .sgpr_count:     14
    .sgpr_spill_count: 0
    .symbol:         _Z17flag_tails_kernelI12hip_bfloat16jN10test_utils7greaterELj464ELj2EEvPT_Px.kd
    .uniform_work_group_size: 1
    .uses_dynamic_stack: false
    .vgpr_count:     6
    .vgpr_spill_count: 0
    .wavefront_size: 32
    .workgroup_processor_mode: 1
  - .args:
      - .address_space:  global
        .offset:         0
        .size:           8
        .value_kind:     global_buffer
      - .address_space:  global
        .offset:         8
        .size:           8
        .value_kind:     global_buffer
    .group_segment_fixed_size: 1856
    .kernarg_segment_align: 8
    .kernarg_segment_size: 16
    .language:       OpenCL C
    .language_version:
      - 2
      - 0
    .max_flat_workgroup_size: 464
    .name:           _Z17flag_tails_kernelI6__halfjN10test_utils7greaterELj464ELj2EEvPT_Px
    .private_segment_fixed_size: 0
    .sgpr_count:     14
    .sgpr_spill_count: 0
    .symbol:         _Z17flag_tails_kernelI6__halfjN10test_utils7greaterELj464ELj2EEvPT_Px.kd
    .uniform_work_group_size: 1
    .uses_dynamic_stack: false
    .vgpr_count:     5
    .vgpr_spill_count: 0
    .wavefront_size: 32
    .workgroup_processor_mode: 1
  - .args:
      - .address_space:  global
        .offset:         0
        .size:           8
        .value_kind:     global_buffer
      - .address_space:  global
        .offset:         8
        .size:           8
        .value_kind:     global_buffer
    .group_segment_fixed_size: 7424
    .kernarg_segment_align: 8
    .kernarg_segment_size: 16
    .language:       OpenCL C
    .language_version:
      - 2
      - 0
    .max_flat_workgroup_size: 464
    .name:           _Z17flag_tails_kernelIdjN6hipcub8EqualityELj464ELj2EEvPT_Px
    .private_segment_fixed_size: 0
    .sgpr_count:     14
    .sgpr_spill_count: 0
    .symbol:         _Z17flag_tails_kernelIdjN6hipcub8EqualityELj464ELj2EEvPT_Px.kd
    .uniform_work_group_size: 1
    .uses_dynamic_stack: false
    .vgpr_count:     10
    .vgpr_spill_count: 0
    .wavefront_size: 32
    .workgroup_processor_mode: 1
  - .args:
      - .address_space:  global
        .offset:         0
        .size:           8
        .value_kind:     global_buffer
      - .address_space:  global
        .offset:         8
        .size:           8
        .value_kind:     global_buffer
    .group_segment_fixed_size: 528
    .kernarg_segment_align: 8
    .kernarg_segment_size: 16
    .language:       OpenCL C
    .language_version:
      - 2
      - 0
    .max_flat_workgroup_size: 33
    .name:           _Z17flag_tails_kernelIdi15custom_flag_op2IdELj33ELj5EEvPT_Px
    .private_segment_fixed_size: 0
    .sgpr_count:     18
    .sgpr_spill_count: 0
    .symbol:         _Z17flag_tails_kernelIdi15custom_flag_op2IdELj33ELj5EEvPT_Px.kd
    .uniform_work_group_size: 1
    .uses_dynamic_stack: false
    .vgpr_count:     23
    .vgpr_spill_count: 0
    .wavefront_size: 32
    .workgroup_processor_mode: 1
  - .args:
      - .address_space:  global
        .offset:         0
        .size:           8
        .value_kind:     global_buffer
      - .address_space:  global
        .offset:         8
        .size:           8
        .value_kind:     global_buffer
    .group_segment_fixed_size: 2048
    .kernarg_segment_align: 8
    .kernarg_segment_size: 16
    .language:       OpenCL C
    .language_version:
      - 2
      - 0
    .max_flat_workgroup_size: 512
    .name:           _Z17flag_tails_kernelIssN6hipcub8EqualityELj512ELj8EEvPT_Px
    .private_segment_fixed_size: 0
    .sgpr_count:     14
    .sgpr_spill_count: 0
    .symbol:         _Z17flag_tails_kernelIssN6hipcub8EqualityELj512ELj8EEvPT_Px.kd
    .uniform_work_group_size: 1
    .uses_dynamic_stack: false
    .vgpr_count:     17
    .vgpr_spill_count: 0
    .wavefront_size: 32
    .workgroup_processor_mode: 1
  - .args:
      - .address_space:  global
        .offset:         0
        .size:           8
        .value_kind:     global_buffer
      - .address_space:  global
        .offset:         8
        .size:           8
        .value_kind:     global_buffer
    .group_segment_fixed_size: 1024
    .kernarg_segment_align: 8
    .kernarg_segment_size: 16
    .language:       OpenCL C
    .language_version:
      - 2
      - 0
    .max_flat_workgroup_size: 256
    .name:           _Z17flag_tails_kernelIth15custom_flag_op2ItELj256ELj7EEvPT_Px
    .private_segment_fixed_size: 0
    .sgpr_count:     14
    .sgpr_spill_count: 0
    .symbol:         _Z17flag_tails_kernelIth15custom_flag_op2ItELj256ELj7EEvPT_Px.kd
    .uniform_work_group_size: 1
    .uses_dynamic_stack: false
    .vgpr_count:     19
    .vgpr_spill_count: 0
    .wavefront_size: 32
    .workgroup_processor_mode: 1
  - .args:
      - .address_space:  global
        .offset:         0
        .size:           8
        .value_kind:     global_buffer
      - .address_space:  global
        .offset:         8
        .size:           8
        .value_kind:     global_buffer
    .group_segment_fixed_size: 1024
    .kernarg_segment_align: 8
    .kernarg_segment_size: 16
    .language:       OpenCL C
    .language_version:
      - 2
      - 0
    .max_flat_workgroup_size: 128
    .name:           _Z17flag_tails_kernelIisN10test_utils4lessELj128ELj4EEvPT_Px
    .private_segment_fixed_size: 0
    .sgpr_count:     14
    .sgpr_spill_count: 0
    .symbol:         _Z17flag_tails_kernelIisN10test_utils4lessELj128ELj4EEvPT_Px.kd
    .uniform_work_group_size: 1
    .uses_dynamic_stack: false
    .vgpr_count:     10
    .vgpr_spill_count: 0
    .wavefront_size: 32
    .workgroup_processor_mode: 1
  - .args:
      - .address_space:  global
        .offset:         0
        .size:           8
        .value_kind:     global_buffer
      - .address_space:  global
        .offset:         8
        .size:           8
        .value_kind:     global_buffer
    .group_segment_fixed_size: 512
    .kernarg_segment_align: 8
    .kernarg_segment_size: 16
    .language:       OpenCL C
    .language_version:
      - 2
      - 0
    .max_flat_workgroup_size: 64
    .name:           _Z17flag_tails_kernelIic15custom_flag_op2IiELj64ELj2EEvPT_Px
    .private_segment_fixed_size: 0
    .sgpr_count:     12
    .sgpr_spill_count: 0
    .symbol:         _Z17flag_tails_kernelIic15custom_flag_op2IiELj64ELj2EEvPT_Px.kd
    .uniform_work_group_size: 1
    .uses_dynamic_stack: false
    .vgpr_count:     7
    .vgpr_spill_count: 0
    .wavefront_size: 32
    .workgroup_processor_mode: 1
  - .args:
      - .address_space:  global
        .offset:         0
        .size:           8
        .value_kind:     global_buffer
      - .address_space:  global
        .offset:         8
        .size:           8
        .value_kind:     global_buffer
    .group_segment_fixed_size: 510
    .kernarg_segment_align: 8
    .kernarg_segment_size: 16
    .language:       OpenCL C
    .language_version:
      - 2
      - 0
    .max_flat_workgroup_size: 255
    .name:           _Z17flag_tails_kernelIhbN6hipcub8EqualityELj255ELj1EEvPT_Px
    .private_segment_fixed_size: 0
    .sgpr_count:     14
    .sgpr_spill_count: 0
    .symbol:         _Z17flag_tails_kernelIhbN6hipcub8EqualityELj255ELj1EEvPT_Px.kd
    .uniform_work_group_size: 1
    .uses_dynamic_stack: false
    .vgpr_count:     3
    .vgpr_spill_count: 0
    .wavefront_size: 32
    .workgroup_processor_mode: 1
  - .args:
      - .address_space:  global
        .offset:         0
        .size:           8
        .value_kind:     global_buffer
      - .address_space:  global
        .offset:         8
        .size:           8
        .value_kind:     global_buffer
    .group_segment_fixed_size: 1296
    .kernarg_segment_align: 8
    .kernarg_segment_size: 16
    .language:       OpenCL C
    .language_version:
      - 2
      - 0
    .max_flat_workgroup_size: 162
    .name:           _Z17flag_tails_kernelIjxN6hipcub10InequalityELj162ELj1EEvPT_Px
    .private_segment_fixed_size: 0
    .sgpr_count:     14
    .sgpr_spill_count: 0
    .symbol:         _Z17flag_tails_kernelIjxN6hipcub10InequalityELj162ELj1EEvPT_Px.kd
    .uniform_work_group_size: 1
    .uses_dynamic_stack: false
    .vgpr_count:     4
    .vgpr_spill_count: 0
    .wavefront_size: 32
    .workgroup_processor_mode: 1
  - .args:
      - .address_space:  global
        .offset:         0
        .size:           8
        .value_kind:     global_buffer
      - .address_space:  global
        .offset:         8
        .size:           8
        .value_kind:     global_buffer
    .group_segment_fixed_size: 8160
    .kernarg_segment_align: 8
    .kernarg_segment_size: 16
    .language:       OpenCL C
    .language_version:
      - 2
      - 0
    .max_flat_workgroup_size: 510
    .name:           _Z17flag_tails_kernelIxcN10test_utils13greater_equalELj510ELj1EEvPT_Px
    .private_segment_fixed_size: 0
    .sgpr_count:     14
    .sgpr_spill_count: 0
    .symbol:         _Z17flag_tails_kernelIxcN10test_utils13greater_equalELj510ELj1EEvPT_Px.kd
    .uniform_work_group_size: 1
    .uses_dynamic_stack: false
    .vgpr_count:     6
    .vgpr_spill_count: 0
    .wavefront_size: 32
    .workgroup_processor_mode: 1
  - .args:
      - .address_space:  global
        .offset:         0
        .size:           8
        .value_kind:     global_buffer
      - .address_space:  global
        .offset:         8
        .size:           8
        .value_kind:     global_buffer
    .group_segment_fixed_size: 148
    .kernarg_segment_align: 8
    .kernarg_segment_size: 16
    .language:       OpenCL C
    .language_version:
      - 2
      - 0
    .max_flat_workgroup_size: 37
    .name:           _Z17flag_tails_kernelI12hip_bfloat16iN10test_utils7greaterELj37ELj1EEvPT_Px
    .private_segment_fixed_size: 0
    .sgpr_count:     14
    .sgpr_spill_count: 0
    .symbol:         _Z17flag_tails_kernelI12hip_bfloat16iN10test_utils7greaterELj37ELj1EEvPT_Px.kd
    .uniform_work_group_size: 1
    .uses_dynamic_stack: false
    .vgpr_count:     5
    .vgpr_spill_count: 0
    .wavefront_size: 32
    .workgroup_processor_mode: 1
  - .args:
      - .address_space:  global
        .offset:         0
        .size:           8
        .value_kind:     global_buffer
      - .address_space:  global
        .offset:         8
        .size:           8
        .value_kind:     global_buffer
    .group_segment_fixed_size: 148
    .kernarg_segment_align: 8
    .kernarg_segment_size: 16
    .language:       OpenCL C
    .language_version:
      - 2
      - 0
    .max_flat_workgroup_size: 37
    .name:           _Z17flag_tails_kernelI6__halfiN10test_utils7greaterELj37ELj1EEvPT_Px
    .private_segment_fixed_size: 0
    .sgpr_count:     14
    .sgpr_spill_count: 0
    .symbol:         _Z17flag_tails_kernelI6__halfiN10test_utils7greaterELj37ELj1EEvPT_Px.kd
    .uniform_work_group_size: 1
    .uses_dynamic_stack: false
    .vgpr_count:     4
    .vgpr_spill_count: 0
    .wavefront_size: 32
    .workgroup_processor_mode: 1
  - .args:
      - .address_space:  global
        .offset:         0
        .size:           8
        .value_kind:     global_buffer
      - .address_space:  global
        .offset:         8
        .size:           8
        .value_kind:     global_buffer
    .group_segment_fixed_size: 296
    .kernarg_segment_align: 8
    .kernarg_segment_size: 16
    .language:       OpenCL C
    .language_version:
      - 2
      - 0
    .max_flat_workgroup_size: 37
    .name:           _Z17flag_tails_kernelIfi15custom_flag_op1IfELj37ELj1EEvPT_Px
    .private_segment_fixed_size: 0
    .sgpr_count:     14
    .sgpr_spill_count: 0
    .symbol:         _Z17flag_tails_kernelIfi15custom_flag_op1IfELj37ELj1EEvPT_Px.kd
    .uniform_work_group_size: 1
    .uses_dynamic_stack: false
    .vgpr_count:     4
    .vgpr_spill_count: 0
    .wavefront_size: 32
    .workgroup_processor_mode: 1
  - .args:
      - .address_space:  global
        .offset:         0
        .size:           8
        .value_kind:     global_buffer
      - .address_space:  global
        .offset:         8
        .size:           8
        .value_kind:     global_buffer
    .group_segment_fixed_size: 1040
    .kernarg_segment_align: 8
    .kernarg_segment_size: 16
    .language:       OpenCL C
    .language_version:
      - 2
      - 0
    .max_flat_workgroup_size: 65
    .name:           _Z17flag_tails_kernelIdjN10test_utils7greaterELj65ELj1EEvPT_Px
    .private_segment_fixed_size: 0
    .sgpr_count:     14
    .sgpr_spill_count: 0
    .symbol:         _Z17flag_tails_kernelIdjN10test_utils7greaterELj65ELj1EEvPT_Px.kd
    .uniform_work_group_size: 1
    .uses_dynamic_stack: false
    .vgpr_count:     6
    .vgpr_spill_count: 0
    .wavefront_size: 32
    .workgroup_processor_mode: 1
  - .args:
      - .address_space:  global
        .offset:         0
        .size:           8
        .value_kind:     global_buffer
      - .address_space:  global
        .offset:         8
        .size:           8
        .value_kind:     global_buffer
    .group_segment_fixed_size: 2048
    .kernarg_segment_align: 8
    .kernarg_segment_size: 16
    .language:       OpenCL C
    .language_version:
      - 2
      - 0
    .max_flat_workgroup_size: 256
    .name:           _Z17flag_tails_kernelIib15custom_flag_op1IiELj256ELj1EEvPT_Px
    .private_segment_fixed_size: 0
    .sgpr_count:     12
    .sgpr_spill_count: 0
    .symbol:         _Z17flag_tails_kernelIib15custom_flag_op1IiELj256ELj1EEvPT_Px.kd
    .uniform_work_group_size: 1
    .uses_dynamic_stack: false
    .vgpr_count:     4
    .vgpr_spill_count: 0
    .wavefront_size: 32
    .workgroup_processor_mode: 1
  - .args:
      - .address_space:  global
        .offset:         0
        .size:           8
        .value_kind:     global_buffer
      - .address_space:  global
        .offset:         8
        .size:           8
        .value_kind:     global_buffer
    .group_segment_fixed_size: 2048
    .kernarg_segment_align: 8
    .kernarg_segment_size: 16
    .language:       OpenCL C
    .language_version:
      - 2
      - 0
    .max_flat_workgroup_size: 1024
    .name:           _Z17flag_tails_kernelIccN10test_utils10less_equalELj1024ELj1EEvPT_Px
    .private_segment_fixed_size: 0
    .sgpr_count:     12
    .sgpr_spill_count: 0
    .symbol:         _Z17flag_tails_kernelIccN10test_utils10less_equalELj1024ELj1EEvPT_Px.kd
    .uniform_work_group_size: 1
    .uses_dynamic_stack: false
    .vgpr_count:     3
    .vgpr_spill_count: 0
    .wavefront_size: 32
    .workgroup_processor_mode: 1
  - .args:
      - .address_space:  global
        .offset:         0
        .size:           8
        .value_kind:     global_buffer
      - .address_space:  global
        .offset:         8
        .size:           8
        .value_kind:     global_buffer
    .group_segment_fixed_size: 1024
    .kernarg_segment_align: 8
    .kernarg_segment_size: 16
    .language:       OpenCL C
    .language_version:
      - 2
      - 0
    .max_flat_workgroup_size: 256
    .name:           _Z17flag_tails_kernelI12hip_bfloat16iN10test_utils4lessELj256ELj1EEvPT_Px
    .private_segment_fixed_size: 0
    .sgpr_count:     12
    .sgpr_spill_count: 0
    .symbol:         _Z17flag_tails_kernelI12hip_bfloat16iN10test_utils4lessELj256ELj1EEvPT_Px.kd
    .uniform_work_group_size: 1
    .uses_dynamic_stack: false
    .vgpr_count:     5
    .vgpr_spill_count: 0
    .wavefront_size: 32
    .workgroup_processor_mode: 1
  - .args:
      - .address_space:  global
        .offset:         0
        .size:           8
        .value_kind:     global_buffer
      - .address_space:  global
        .offset:         8
        .size:           8
        .value_kind:     global_buffer
    .group_segment_fixed_size: 1024
    .kernarg_segment_align: 8
    .kernarg_segment_size: 16
    .language:       OpenCL C
    .language_version:
      - 2
      - 0
    .max_flat_workgroup_size: 256
    .name:           _Z17flag_tails_kernelI6__halfiN10test_utils4lessELj256ELj1EEvPT_Px
    .private_segment_fixed_size: 0
    .sgpr_count:     12
    .sgpr_spill_count: 0
    .symbol:         _Z17flag_tails_kernelI6__halfiN10test_utils4lessELj256ELj1EEvPT_Px.kd
    .uniform_work_group_size: 1
    .uses_dynamic_stack: false
    .vgpr_count:     4
    .vgpr_spill_count: 0
    .wavefront_size: 32
    .workgroup_processor_mode: 1
  - .args:
      - .address_space:  global
        .offset:         0
        .size:           8
        .value_kind:     global_buffer
      - .address_space:  global
        .offset:         8
        .size:           8
        .value_kind:     global_buffer
    .group_segment_fixed_size: 2048
    .kernarg_segment_align: 8
    .kernarg_segment_size: 16
    .language:       OpenCL C
    .language_version:
      - 2
      - 0
    .max_flat_workgroup_size: 256
    .name:           _Z17flag_tails_kernelIfiN10test_utils4lessELj256ELj1EEvPT_Px
    .private_segment_fixed_size: 0
    .sgpr_count:     12
    .sgpr_spill_count: 0
    .symbol:         _Z17flag_tails_kernelIfiN10test_utils4lessELj256ELj1EEvPT_Px.kd
    .uniform_work_group_size: 1
    .uses_dynamic_stack: false
    .vgpr_count:     4
    .vgpr_spill_count: 0
    .wavefront_size: 32
    .workgroup_processor_mode: 1
  - .args:
      - .address_space:  global
        .offset:         0
        .size:           8
        .value_kind:     global_buffer
      - .address_space:  global
        .offset:         8
        .size:           8
        .value_kind:     global_buffer
    .group_segment_fixed_size: 1024
    .kernarg_segment_align: 8
    .kernarg_segment_size: 16
    .language:       OpenCL C
    .language_version:
      - 2
      - 0
    .max_flat_workgroup_size: 128
    .name:           _Z17flag_tails_kernelIibN6hipcub10InequalityELj128ELj1EEvPT_Px
    .private_segment_fixed_size: 0
    .sgpr_count:     12
    .sgpr_spill_count: 0
    .symbol:         _Z17flag_tails_kernelIibN6hipcub10InequalityELj128ELj1EEvPT_Px.kd
    .uniform_work_group_size: 1
    .uses_dynamic_stack: false
    .vgpr_count:     4
    .vgpr_spill_count: 0
    .wavefront_size: 32
    .workgroup_processor_mode: 1
  - .args:
      - .address_space:  global
        .offset:         0
        .size:           8
        .value_kind:     global_buffer
      - .address_space:  global
        .offset:         8
        .size:           8
        .value_kind:     global_buffer
    .group_segment_fixed_size: 512
    .kernarg_segment_align: 8
    .kernarg_segment_size: 16
    .language:       OpenCL C
    .language_version:
      - 2
      - 0
    .max_flat_workgroup_size: 64
    .name:           _Z17flag_tails_kernelIjiN6hipcub8EqualityELj64ELj1EEvPT_Px
    .private_segment_fixed_size: 0
    .sgpr_count:     12
    .sgpr_spill_count: 0
    .symbol:         _Z17flag_tails_kernelIjiN6hipcub8EqualityELj64ELj1EEvPT_Px.kd
    .uniform_work_group_size: 1
    .uses_dynamic_stack: false
    .vgpr_count:     4
    .vgpr_spill_count: 0
    .wavefront_size: 32
    .workgroup_processor_mode: 1
  - .args:
      - .address_space:  global
        .offset:         0
        .size:           8
        .value_kind:     global_buffer
      - .address_space:  global
        .offset:         8
        .size:           8
        .value_kind:     global_buffer
      - .address_space:  global
        .offset:         16
        .size:           8
        .value_kind:     global_buffer
    .group_segment_fixed_size: 936
    .kernarg_segment_align: 8
    .kernarg_segment_size: 24
    .language:       OpenCL C
    .language_version:
      - 2
      - 0
    .max_flat_workgroup_size: 234
    .name:           _Z27flag_heads_and_tails_kernelIsb15custom_flag_op1IsELj234ELj9EEvPT_PxS4_
    .private_segment_fixed_size: 0
    .sgpr_count:     22
    .sgpr_spill_count: 0
    .symbol:         _Z27flag_heads_and_tails_kernelIsb15custom_flag_op1IsELj234ELj9EEvPT_PxS4_.kd
    .uniform_work_group_size: 1
    .uses_dynamic_stack: false
    .vgpr_count:     23
    .vgpr_spill_count: 0
    .wavefront_size: 32
    .workgroup_processor_mode: 1
  - .args:
      - .address_space:  global
        .offset:         0
        .size:           8
        .value_kind:     global_buffer
      - .address_space:  global
        .offset:         8
        .size:           8
        .value_kind:     global_buffer
      - .address_space:  global
        .offset:         16
        .size:           8
        .value_kind:     global_buffer
    .group_segment_fixed_size: 400
    .kernarg_segment_align: 8
    .kernarg_segment_size: 24
    .language:       OpenCL C
    .language_version:
      - 2
      - 0
    .max_flat_workgroup_size: 100
    .name:           _Z27flag_heads_and_tails_kernelItiN10test_utils7greaterELj100ELj3EEvPT_PxS4_
    .private_segment_fixed_size: 0
    .sgpr_count:     16
    .sgpr_spill_count: 0
    .symbol:         _Z27flag_heads_and_tails_kernelItiN10test_utils7greaterELj100ELj3EEvPT_PxS4_.kd
    .uniform_work_group_size: 1
    .uses_dynamic_stack: false
    .vgpr_count:     9
    .vgpr_spill_count: 0
    .wavefront_size: 32
    .workgroup_processor_mode: 1
  - .args:
      - .address_space:  global
        .offset:         0
        .size:           8
        .value_kind:     global_buffer
      - .address_space:  global
        .offset:         8
        .size:           8
        .value_kind:     global_buffer
      - .address_space:  global
        .offset:         16
        .size:           8
        .value_kind:     global_buffer
    .group_segment_fixed_size: 1856
    .kernarg_segment_align: 8
    .kernarg_segment_size: 24
    .language:       OpenCL C
    .language_version:
      - 2
      - 0
    .max_flat_workgroup_size: 464
    .name:           _Z27flag_heads_and_tails_kernelI12hip_bfloat16jN10test_utils7greaterELj464ELj2EEvPT_PxS5_
    .private_segment_fixed_size: 0
    .sgpr_count:     16
    .sgpr_spill_count: 0
    .symbol:         _Z27flag_heads_and_tails_kernelI12hip_bfloat16jN10test_utils7greaterELj464ELj2EEvPT_PxS5_.kd
    .uniform_work_group_size: 1
    .uses_dynamic_stack: false
    .vgpr_count:     9
    .vgpr_spill_count: 0
    .wavefront_size: 32
    .workgroup_processor_mode: 1
  - .args:
      - .address_space:  global
        .offset:         0
        .size:           8
        .value_kind:     global_buffer
      - .address_space:  global
        .offset:         8
        .size:           8
        .value_kind:     global_buffer
      - .address_space:  global
        .offset:         16
        .size:           8
        .value_kind:     global_buffer
    .group_segment_fixed_size: 1856
    .kernarg_segment_align: 8
    .kernarg_segment_size: 24
    .language:       OpenCL C
    .language_version:
      - 2
      - 0
    .max_flat_workgroup_size: 464
    .name:           _Z27flag_heads_and_tails_kernelI6__halfjN10test_utils7greaterELj464ELj2EEvPT_PxS5_
    .private_segment_fixed_size: 0
    .sgpr_count:     16
    .sgpr_spill_count: 0
    .symbol:         _Z27flag_heads_and_tails_kernelI6__halfjN10test_utils7greaterELj464ELj2EEvPT_PxS5_.kd
    .uniform_work_group_size: 1
    .uses_dynamic_stack: false
    .vgpr_count:     7
    .vgpr_spill_count: 0
    .wavefront_size: 32
    .workgroup_processor_mode: 1
  - .args:
      - .address_space:  global
        .offset:         0
        .size:           8
        .value_kind:     global_buffer
      - .address_space:  global
        .offset:         8
        .size:           8
        .value_kind:     global_buffer
      - .address_space:  global
        .offset:         16
        .size:           8
        .value_kind:     global_buffer
    .group_segment_fixed_size: 7424
    .kernarg_segment_align: 8
    .kernarg_segment_size: 24
    .language:       OpenCL C
    .language_version:
      - 2
      - 0
    .max_flat_workgroup_size: 464
    .name:           _Z27flag_heads_and_tails_kernelIdjN6hipcub8EqualityELj464ELj2EEvPT_PxS4_
    .private_segment_fixed_size: 0
    .sgpr_count:     16
    .sgpr_spill_count: 0
    .symbol:         _Z27flag_heads_and_tails_kernelIdjN6hipcub8EqualityELj464ELj2EEvPT_PxS4_.kd
    .uniform_work_group_size: 1
    .uses_dynamic_stack: false
    .vgpr_count:     12
    .vgpr_spill_count: 0
    .wavefront_size: 32
    .workgroup_processor_mode: 1
  - .args:
      - .address_space:  global
        .offset:         0
        .size:           8
        .value_kind:     global_buffer
      - .address_space:  global
        .offset:         8
        .size:           8
        .value_kind:     global_buffer
      - .address_space:  global
        .offset:         16
        .size:           8
        .value_kind:     global_buffer
    .group_segment_fixed_size: 528
    .kernarg_segment_align: 8
    .kernarg_segment_size: 24
    .language:       OpenCL C
    .language_version:
      - 2
      - 0
    .max_flat_workgroup_size: 33
    .name:           _Z27flag_heads_and_tails_kernelIdi15custom_flag_op2IdELj33ELj5EEvPT_PxS4_
    .private_segment_fixed_size: 0
    .sgpr_count:     20
    .sgpr_spill_count: 0
    .symbol:         _Z27flag_heads_and_tails_kernelIdi15custom_flag_op2IdELj33ELj5EEvPT_PxS4_.kd
    .uniform_work_group_size: 1
    .uses_dynamic_stack: false
    .vgpr_count:     25
    .vgpr_spill_count: 0
    .wavefront_size: 32
    .workgroup_processor_mode: 1
  - .args:
      - .address_space:  global
        .offset:         0
        .size:           8
        .value_kind:     global_buffer
      - .address_space:  global
        .offset:         8
        .size:           8
        .value_kind:     global_buffer
      - .address_space:  global
        .offset:         16
        .size:           8
        .value_kind:     global_buffer
    .group_segment_fixed_size: 2048
    .kernarg_segment_align: 8
    .kernarg_segment_size: 24
    .language:       OpenCL C
    .language_version:
      - 2
      - 0
    .max_flat_workgroup_size: 512
    .name:           _Z27flag_heads_and_tails_kernelIssN6hipcub8EqualityELj512ELj8EEvPT_PxS4_
    .private_segment_fixed_size: 0
    .sgpr_count:     20
    .sgpr_spill_count: 0
    .symbol:         _Z27flag_heads_and_tails_kernelIssN6hipcub8EqualityELj512ELj8EEvPT_PxS4_.kd
    .uniform_work_group_size: 1
    .uses_dynamic_stack: false
    .vgpr_count:     24
    .vgpr_spill_count: 0
    .wavefront_size: 32
    .workgroup_processor_mode: 1
  - .args:
      - .address_space:  global
        .offset:         0
        .size:           8
        .value_kind:     global_buffer
      - .address_space:  global
        .offset:         8
        .size:           8
        .value_kind:     global_buffer
      - .address_space:  global
        .offset:         16
        .size:           8
        .value_kind:     global_buffer
    .group_segment_fixed_size: 1024
    .kernarg_segment_align: 8
    .kernarg_segment_size: 24
    .language:       OpenCL C
    .language_version:
      - 2
      - 0
    .max_flat_workgroup_size: 256
    .name:           _Z27flag_heads_and_tails_kernelIth15custom_flag_op2ItELj256ELj7EEvPT_PxS4_
    .private_segment_fixed_size: 0
    .sgpr_count:     16
    .sgpr_spill_count: 0
    .symbol:         _Z27flag_heads_and_tails_kernelIth15custom_flag_op2ItELj256ELj7EEvPT_PxS4_.kd
    .uniform_work_group_size: 1
    .uses_dynamic_stack: false
    .vgpr_count:     21
    .vgpr_spill_count: 0
    .wavefront_size: 32
    .workgroup_processor_mode: 1
  - .args:
      - .address_space:  global
        .offset:         0
        .size:           8
        .value_kind:     global_buffer
      - .address_space:  global
        .offset:         8
        .size:           8
        .value_kind:     global_buffer
      - .address_space:  global
        .offset:         16
        .size:           8
        .value_kind:     global_buffer
    .group_segment_fixed_size: 1024
    .kernarg_segment_align: 8
    .kernarg_segment_size: 24
    .language:       OpenCL C
    .language_version:
      - 2
      - 0
    .max_flat_workgroup_size: 128
    .name:           _Z27flag_heads_and_tails_kernelIisN10test_utils4lessELj128ELj4EEvPT_PxS4_
    .private_segment_fixed_size: 0
    .sgpr_count:     16
    .sgpr_spill_count: 0
    .symbol:         _Z27flag_heads_and_tails_kernelIisN10test_utils4lessELj128ELj4EEvPT_PxS4_.kd
    .uniform_work_group_size: 1
    .uses_dynamic_stack: false
    .vgpr_count:     14
    .vgpr_spill_count: 0
    .wavefront_size: 32
    .workgroup_processor_mode: 1
  - .args:
      - .address_space:  global
        .offset:         0
        .size:           8
        .value_kind:     global_buffer
      - .address_space:  global
        .offset:         8
        .size:           8
        .value_kind:     global_buffer
      - .address_space:  global
        .offset:         16
        .size:           8
        .value_kind:     global_buffer
    .group_segment_fixed_size: 512
    .kernarg_segment_align: 8
    .kernarg_segment_size: 24
    .language:       OpenCL C
    .language_version:
      - 2
      - 0
    .max_flat_workgroup_size: 64
    .name:           _Z27flag_heads_and_tails_kernelIic15custom_flag_op2IiELj64ELj2EEvPT_PxS4_
    .private_segment_fixed_size: 0
    .sgpr_count:     16
    .sgpr_spill_count: 0
    .symbol:         _Z27flag_heads_and_tails_kernelIic15custom_flag_op2IiELj64ELj2EEvPT_PxS4_.kd
    .uniform_work_group_size: 1
    .uses_dynamic_stack: false
    .vgpr_count:     9
    .vgpr_spill_count: 0
    .wavefront_size: 32
    .workgroup_processor_mode: 1
  - .args:
      - .address_space:  global
        .offset:         0
        .size:           8
        .value_kind:     global_buffer
      - .address_space:  global
        .offset:         8
        .size:           8
        .value_kind:     global_buffer
      - .address_space:  global
        .offset:         16
        .size:           8
        .value_kind:     global_buffer
    .group_segment_fixed_size: 510
    .kernarg_segment_align: 8
    .kernarg_segment_size: 24
    .language:       OpenCL C
    .language_version:
      - 2
      - 0
    .max_flat_workgroup_size: 255
    .name:           _Z27flag_heads_and_tails_kernelIhbN6hipcub8EqualityELj255ELj1EEvPT_PxS4_
    .private_segment_fixed_size: 0
    .sgpr_count:     14
    .sgpr_spill_count: 0
    .symbol:         _Z27flag_heads_and_tails_kernelIhbN6hipcub8EqualityELj255ELj1EEvPT_PxS4_.kd
    .uniform_work_group_size: 1
    .uses_dynamic_stack: false
    .vgpr_count:     5
    .vgpr_spill_count: 0
    .wavefront_size: 32
    .workgroup_processor_mode: 1
  - .args:
      - .address_space:  global
        .offset:         0
        .size:           8
        .value_kind:     global_buffer
      - .address_space:  global
        .offset:         8
        .size:           8
        .value_kind:     global_buffer
      - .address_space:  global
        .offset:         16
        .size:           8
        .value_kind:     global_buffer
    .group_segment_fixed_size: 1296
    .kernarg_segment_align: 8
    .kernarg_segment_size: 24
    .language:       OpenCL C
    .language_version:
      - 2
      - 0
    .max_flat_workgroup_size: 162
    .name:           _Z27flag_heads_and_tails_kernelIjxN6hipcub10InequalityELj162ELj1EEvPT_PxS4_
    .private_segment_fixed_size: 0
    .sgpr_count:     16
    .sgpr_spill_count: 0
    .symbol:         _Z27flag_heads_and_tails_kernelIjxN6hipcub10InequalityELj162ELj1EEvPT_PxS4_.kd
    .uniform_work_group_size: 1
    .uses_dynamic_stack: false
    .vgpr_count:     6
    .vgpr_spill_count: 0
    .wavefront_size: 32
    .workgroup_processor_mode: 1
  - .args:
      - .address_space:  global
        .offset:         0
        .size:           8
        .value_kind:     global_buffer
      - .address_space:  global
        .offset:         8
        .size:           8
        .value_kind:     global_buffer
      - .address_space:  global
        .offset:         16
        .size:           8
        .value_kind:     global_buffer
    .group_segment_fixed_size: 8160
    .kernarg_segment_align: 8
    .kernarg_segment_size: 24
    .language:       OpenCL C
    .language_version:
      - 2
      - 0
    .max_flat_workgroup_size: 510
    .name:           _Z27flag_heads_and_tails_kernelIxcN10test_utils13greater_equalELj510ELj1EEvPT_PxS4_
    .private_segment_fixed_size: 0
    .sgpr_count:     18
    .sgpr_spill_count: 0
    .symbol:         _Z27flag_heads_and_tails_kernelIxcN10test_utils13greater_equalELj510ELj1EEvPT_PxS4_.kd
    .uniform_work_group_size: 1
    .uses_dynamic_stack: false
    .vgpr_count:     8
    .vgpr_spill_count: 0
    .wavefront_size: 32
    .workgroup_processor_mode: 1
  - .args:
      - .address_space:  global
        .offset:         0
        .size:           8
        .value_kind:     global_buffer
      - .address_space:  global
        .offset:         8
        .size:           8
        .value_kind:     global_buffer
      - .address_space:  global
        .offset:         16
        .size:           8
        .value_kind:     global_buffer
    .group_segment_fixed_size: 148
    .kernarg_segment_align: 8
    .kernarg_segment_size: 24
    .language:       OpenCL C
    .language_version:
      - 2
      - 0
    .max_flat_workgroup_size: 37
    .name:           _Z27flag_heads_and_tails_kernelI12hip_bfloat16iN10test_utils7greaterELj37ELj1EEvPT_PxS5_
    .private_segment_fixed_size: 0
    .sgpr_count:     16
    .sgpr_spill_count: 0
    .symbol:         _Z27flag_heads_and_tails_kernelI12hip_bfloat16iN10test_utils7greaterELj37ELj1EEvPT_PxS5_.kd
    .uniform_work_group_size: 1
    .uses_dynamic_stack: false
    .vgpr_count:     6
    .vgpr_spill_count: 0
    .wavefront_size: 32
    .workgroup_processor_mode: 1
  - .args:
      - .address_space:  global
        .offset:         0
        .size:           8
        .value_kind:     global_buffer
      - .address_space:  global
        .offset:         8
        .size:           8
        .value_kind:     global_buffer
      - .address_space:  global
        .offset:         16
        .size:           8
        .value_kind:     global_buffer
    .group_segment_fixed_size: 148
    .kernarg_segment_align: 8
    .kernarg_segment_size: 24
    .language:       OpenCL C
    .language_version:
      - 2
      - 0
    .max_flat_workgroup_size: 37
    .name:           _Z27flag_heads_and_tails_kernelI6__halfiN10test_utils7greaterELj37ELj1EEvPT_PxS5_
    .private_segment_fixed_size: 0
    .sgpr_count:     16
    .sgpr_spill_count: 0
    .symbol:         _Z27flag_heads_and_tails_kernelI6__halfiN10test_utils7greaterELj37ELj1EEvPT_PxS5_.kd
    .uniform_work_group_size: 1
    .uses_dynamic_stack: false
    .vgpr_count:     5
    .vgpr_spill_count: 0
    .wavefront_size: 32
    .workgroup_processor_mode: 1
  - .args:
      - .address_space:  global
        .offset:         0
        .size:           8
        .value_kind:     global_buffer
      - .address_space:  global
        .offset:         8
        .size:           8
        .value_kind:     global_buffer
      - .address_space:  global
        .offset:         16
        .size:           8
        .value_kind:     global_buffer
    .group_segment_fixed_size: 296
    .kernarg_segment_align: 8
    .kernarg_segment_size: 24
    .language:       OpenCL C
    .language_version:
      - 2
      - 0
    .max_flat_workgroup_size: 37
    .name:           _Z27flag_heads_and_tails_kernelIfi15custom_flag_op1IfELj37ELj1EEvPT_PxS4_
    .private_segment_fixed_size: 0
    .sgpr_count:     16
    .sgpr_spill_count: 0
    .symbol:         _Z27flag_heads_and_tails_kernelIfi15custom_flag_op1IfELj37ELj1EEvPT_PxS4_.kd
    .uniform_work_group_size: 1
    .uses_dynamic_stack: false
    .vgpr_count:     5
    .vgpr_spill_count: 0
    .wavefront_size: 32
    .workgroup_processor_mode: 1
  - .args:
      - .address_space:  global
        .offset:         0
        .size:           8
        .value_kind:     global_buffer
      - .address_space:  global
        .offset:         8
        .size:           8
        .value_kind:     global_buffer
      - .address_space:  global
        .offset:         16
        .size:           8
        .value_kind:     global_buffer
    .group_segment_fixed_size: 1040
    .kernarg_segment_align: 8
    .kernarg_segment_size: 24
    .language:       OpenCL C
    .language_version:
      - 2
      - 0
    .max_flat_workgroup_size: 65
    .name:           _Z27flag_heads_and_tails_kernelIdjN10test_utils7greaterELj65ELj1EEvPT_PxS4_
    .private_segment_fixed_size: 0
    .sgpr_count:     18
    .sgpr_spill_count: 0
    .symbol:         _Z27flag_heads_and_tails_kernelIdjN10test_utils7greaterELj65ELj1EEvPT_PxS4_.kd
    .uniform_work_group_size: 1
    .uses_dynamic_stack: false
    .vgpr_count:     8
    .vgpr_spill_count: 0
    .wavefront_size: 32
    .workgroup_processor_mode: 1
  - .args:
      - .address_space:  global
        .offset:         0
        .size:           8
        .value_kind:     global_buffer
      - .address_space:  global
        .offset:         8
        .size:           8
        .value_kind:     global_buffer
      - .address_space:  global
        .offset:         16
        .size:           8
        .value_kind:     global_buffer
    .group_segment_fixed_size: 2048
    .kernarg_segment_align: 8
    .kernarg_segment_size: 24
    .language:       OpenCL C
    .language_version:
      - 2
      - 0
    .max_flat_workgroup_size: 256
    .name:           _Z27flag_heads_and_tails_kernelIib15custom_flag_op1IiELj256ELj1EEvPT_PxS4_
    .private_segment_fixed_size: 0
    .sgpr_count:     16
    .sgpr_spill_count: 0
    .symbol:         _Z27flag_heads_and_tails_kernelIib15custom_flag_op1IiELj256ELj1EEvPT_PxS4_.kd
    .uniform_work_group_size: 1
    .uses_dynamic_stack: false
    .vgpr_count:     5
    .vgpr_spill_count: 0
    .wavefront_size: 32
    .workgroup_processor_mode: 1
  - .args:
      - .address_space:  global
        .offset:         0
        .size:           8
        .value_kind:     global_buffer
      - .address_space:  global
        .offset:         8
        .size:           8
        .value_kind:     global_buffer
      - .address_space:  global
        .offset:         16
        .size:           8
        .value_kind:     global_buffer
    .group_segment_fixed_size: 2048
    .kernarg_segment_align: 8
    .kernarg_segment_size: 24
    .language:       OpenCL C
    .language_version:
      - 2
      - 0
    .max_flat_workgroup_size: 1024
    .name:           _Z27flag_heads_and_tails_kernelIccN10test_utils10less_equalELj1024ELj1EEvPT_PxS4_
    .private_segment_fixed_size: 0
    .sgpr_count:     14
    .sgpr_spill_count: 0
    .symbol:         _Z27flag_heads_and_tails_kernelIccN10test_utils10less_equalELj1024ELj1EEvPT_PxS4_.kd
    .uniform_work_group_size: 1
    .uses_dynamic_stack: false
    .vgpr_count:     5
    .vgpr_spill_count: 0
    .wavefront_size: 32
    .workgroup_processor_mode: 1
  - .args:
      - .address_space:  global
        .offset:         0
        .size:           8
        .value_kind:     global_buffer
      - .address_space:  global
        .offset:         8
        .size:           8
        .value_kind:     global_buffer
      - .address_space:  global
        .offset:         16
        .size:           8
        .value_kind:     global_buffer
    .group_segment_fixed_size: 1024
    .kernarg_segment_align: 8
    .kernarg_segment_size: 24
    .language:       OpenCL C
    .language_version:
      - 2
      - 0
    .max_flat_workgroup_size: 256
    .name:           _Z27flag_heads_and_tails_kernelI12hip_bfloat16iN10test_utils4lessELj256ELj1EEvPT_PxS5_
    .private_segment_fixed_size: 0
    .sgpr_count:     16
    .sgpr_spill_count: 0
    .symbol:         _Z27flag_heads_and_tails_kernelI12hip_bfloat16iN10test_utils4lessELj256ELj1EEvPT_PxS5_.kd
    .uniform_work_group_size: 1
    .uses_dynamic_stack: false
    .vgpr_count:     6
    .vgpr_spill_count: 0
    .wavefront_size: 32
    .workgroup_processor_mode: 1
  - .args:
      - .address_space:  global
        .offset:         0
        .size:           8
        .value_kind:     global_buffer
      - .address_space:  global
        .offset:         8
        .size:           8
        .value_kind:     global_buffer
      - .address_space:  global
        .offset:         16
        .size:           8
        .value_kind:     global_buffer
    .group_segment_fixed_size: 1024
    .kernarg_segment_align: 8
    .kernarg_segment_size: 24
    .language:       OpenCL C
    .language_version:
      - 2
      - 0
    .max_flat_workgroup_size: 256
    .name:           _Z27flag_heads_and_tails_kernelI6__halfiN10test_utils4lessELj256ELj1EEvPT_PxS5_
    .private_segment_fixed_size: 0
    .sgpr_count:     16
    .sgpr_spill_count: 0
    .symbol:         _Z27flag_heads_and_tails_kernelI6__halfiN10test_utils4lessELj256ELj1EEvPT_PxS5_.kd
    .uniform_work_group_size: 1
    .uses_dynamic_stack: false
    .vgpr_count:     5
    .vgpr_spill_count: 0
    .wavefront_size: 32
    .workgroup_processor_mode: 1
  - .args:
      - .address_space:  global
        .offset:         0
        .size:           8
        .value_kind:     global_buffer
      - .address_space:  global
        .offset:         8
        .size:           8
        .value_kind:     global_buffer
      - .address_space:  global
        .offset:         16
        .size:           8
        .value_kind:     global_buffer
    .group_segment_fixed_size: 2048
    .kernarg_segment_align: 8
    .kernarg_segment_size: 24
    .language:       OpenCL C
    .language_version:
      - 2
      - 0
    .max_flat_workgroup_size: 256
    .name:           _Z27flag_heads_and_tails_kernelIfiN10test_utils4lessELj256ELj1EEvPT_PxS4_
    .private_segment_fixed_size: 0
    .sgpr_count:     16
    .sgpr_spill_count: 0
    .symbol:         _Z27flag_heads_and_tails_kernelIfiN10test_utils4lessELj256ELj1EEvPT_PxS4_.kd
    .uniform_work_group_size: 1
    .uses_dynamic_stack: false
    .vgpr_count:     5
    .vgpr_spill_count: 0
    .wavefront_size: 32
    .workgroup_processor_mode: 1
  - .args:
      - .address_space:  global
        .offset:         0
        .size:           8
        .value_kind:     global_buffer
      - .address_space:  global
        .offset:         8
        .size:           8
        .value_kind:     global_buffer
      - .address_space:  global
        .offset:         16
        .size:           8
        .value_kind:     global_buffer
    .group_segment_fixed_size: 1024
    .kernarg_segment_align: 8
    .kernarg_segment_size: 24
    .language:       OpenCL C
    .language_version:
      - 2
      - 0
    .max_flat_workgroup_size: 128
    .name:           _Z27flag_heads_and_tails_kernelIibN6hipcub10InequalityELj128ELj1EEvPT_PxS4_
    .private_segment_fixed_size: 0
    .sgpr_count:     16
    .sgpr_spill_count: 0
    .symbol:         _Z27flag_heads_and_tails_kernelIibN6hipcub10InequalityELj128ELj1EEvPT_PxS4_.kd
    .uniform_work_group_size: 1
    .uses_dynamic_stack: false
    .vgpr_count:     5
    .vgpr_spill_count: 0
    .wavefront_size: 32
    .workgroup_processor_mode: 1
  - .args:
      - .address_space:  global
        .offset:         0
        .size:           8
        .value_kind:     global_buffer
      - .address_space:  global
        .offset:         8
        .size:           8
        .value_kind:     global_buffer
      - .address_space:  global
        .offset:         16
        .size:           8
        .value_kind:     global_buffer
    .group_segment_fixed_size: 512
    .kernarg_segment_align: 8
    .kernarg_segment_size: 24
    .language:       OpenCL C
    .language_version:
      - 2
      - 0
    .max_flat_workgroup_size: 64
    .name:           _Z27flag_heads_and_tails_kernelIjiN6hipcub8EqualityELj64ELj1EEvPT_PxS4_
    .private_segment_fixed_size: 0
    .sgpr_count:     16
    .sgpr_spill_count: 0
    .symbol:         _Z27flag_heads_and_tails_kernelIjiN6hipcub8EqualityELj64ELj1EEvPT_PxS4_.kd
    .uniform_work_group_size: 1
    .uses_dynamic_stack: false
    .vgpr_count:     5
    .vgpr_spill_count: 0
    .wavefront_size: 32
    .workgroup_processor_mode: 1
amdhsa.target:   amdgcn-amd-amdhsa--gfx1030
amdhsa.version:
  - 1
  - 2
...

	.end_amdgpu_metadata
